;; amdgpu-corpus repo=ROCm/rocFFT kind=compiled arch=gfx906 opt=O3
	.text
	.amdgcn_target "amdgcn-amd-amdhsa--gfx906"
	.amdhsa_code_object_version 6
	.protected	bluestein_single_back_len1617_dim1_half_op_CI_CI ; -- Begin function bluestein_single_back_len1617_dim1_half_op_CI_CI
	.globl	bluestein_single_back_len1617_dim1_half_op_CI_CI
	.p2align	8
	.type	bluestein_single_back_len1617_dim1_half_op_CI_CI,@function
bluestein_single_back_len1617_dim1_half_op_CI_CI: ; @bluestein_single_back_len1617_dim1_half_op_CI_CI
; %bb.0:
	s_load_dwordx4 s[8:11], s[4:5], 0x28
	v_mul_u32_u24_e32 v1, 0x11c, v0
	v_add_u32_sdwa v18, s6, v1 dst_sel:DWORD dst_unused:UNUSED_PAD src0_sel:DWORD src1_sel:WORD_1
	v_mov_b32_e32 v19, 0
	s_waitcnt lgkmcnt(0)
	v_cmp_gt_u64_e32 vcc, s[8:9], v[18:19]
	s_and_saveexec_b64 s[0:1], vcc
	s_cbranch_execz .LBB0_23
; %bb.1:
	s_load_dwordx4 s[12:15], s[4:5], 0x18
	s_load_dwordx2 s[16:17], s[4:5], 0x0
	s_movk_i32 s6, 0xe7
	v_mul_lo_u16_sdwa v1, v1, s6 dst_sel:DWORD dst_unused:UNUSED_PAD src0_sel:WORD_1 src1_sel:DWORD
	v_sub_u16_e32 v40, v0, v1
	s_waitcnt lgkmcnt(0)
	s_load_dwordx4 s[0:3], s[12:13], 0x0
	v_lshlrev_b32_e32 v35, 2, v40
	global_load_dword v42, v35, s[16:17]
	s_waitcnt lgkmcnt(0)
	v_mad_u64_u32 v[0:1], s[6:7], s2, v18, 0
	v_mad_u64_u32 v[2:3], s[6:7], s0, v40, 0
	s_movk_i32 s6, 0x1000
	s_mul_i32 s7, s1, 0x21b
	v_mad_u64_u32 v[4:5], s[2:3], s3, v18, v[1:2]
	s_mul_hi_u32 s9, s0, 0x21b
	s_add_i32 s7, s9, s7
	v_mad_u64_u32 v[5:6], s[2:3], s1, v40, v[3:4]
	v_mov_b32_e32 v1, v4
	v_lshlrev_b64 v[0:1], 2, v[0:1]
	v_mov_b32_e32 v6, s11
	v_mov_b32_e32 v3, v5
	v_add_co_u32_e32 v4, vcc, s10, v0
	v_addc_co_u32_e32 v5, vcc, v6, v1, vcc
	v_lshlrev_b64 v[0:1], 2, v[2:3]
	v_mov_b32_e32 v2, s17
	v_add_co_u32_e32 v0, vcc, v4, v0
	v_add_co_u32_e64 v16, s[2:3], s16, v35
	v_addc_co_u32_e32 v1, vcc, v5, v1, vcc
	v_addc_co_u32_e64 v17, vcc, 0, v2, s[2:3]
	v_add_co_u32_e32 v2, vcc, s6, v16
	s_mul_i32 s6, s0, 0x21b
	v_addc_co_u32_e32 v3, vcc, 0, v17, vcc
	s_lshl_b64 s[12:13], s[6:7], 2
	global_load_dword v4, v[0:1], off
	v_mov_b32_e32 v5, s13
	v_add_co_u32_e32 v0, vcc, s12, v0
	s_mul_hi_u32 s10, s0, 0xfffffcb1
	v_addc_co_u32_e32 v1, vcc, v1, v5, vcc
	global_load_dword v39, v[2:3], off offset:216
	s_mulk_i32 s1, 0xfcb1
	s_mul_i32 s8, s0, 0xfffffcb1
	s_sub_i32 s0, s10, s0
	global_load_dword v6, v[0:1], off
	global_load_dword v41, v35, s[16:17] offset:2156
	v_add_co_u32_e32 v0, vcc, s12, v0
	s_add_i32 s9, s0, s1
	v_addc_co_u32_e32 v1, vcc, v1, v5, vcc
	s_lshl_b64 s[18:19], s[8:9], 2
	global_load_dword v7, v[0:1], off
	v_mov_b32_e32 v8, s19
	v_add_co_u32_e32 v0, vcc, s18, v0
	v_addc_co_u32_e32 v1, vcc, v1, v8, vcc
	global_load_dword v8, v[0:1], off
	global_load_dword v38, v35, s[16:17] offset:924
	v_add_co_u32_e32 v0, vcc, s12, v0
	v_addc_co_u32_e32 v1, vcc, v1, v5, vcc
	global_load_dword v9, v[0:1], off
	global_load_dword v37, v35, s[16:17] offset:3080
	v_add_co_u32_e32 v0, vcc, s12, v0
	v_addc_co_u32_e32 v1, vcc, v1, v5, vcc
	global_load_dword v5, v[0:1], off
	global_load_dword v36, v[2:3], off offset:1140
	s_load_dwordx2 s[6:7], s[4:5], 0x38
	s_load_dwordx4 s[8:11], s[14:15], 0x0
	s_movk_i32 s0, 0x4d
	v_cmp_gt_u16_e64 s[0:1], s0, v40
	s_waitcnt vmcnt(10)
	v_lshrrev_b32_e32 v2, 16, v4
	v_mul_f16_sdwa v3, v42, v4 dst_sel:DWORD dst_unused:UNUSED_PAD src0_sel:WORD_1 src1_sel:DWORD
	v_fma_f16 v3, v42, v2, -v3
	v_mul_f16_sdwa v2, v42, v2 dst_sel:DWORD dst_unused:UNUSED_PAD src0_sel:WORD_1 src1_sel:DWORD
	v_fma_f16 v2, v42, v4, v2
	v_pack_b32_f16 v2, v2, v3
	s_waitcnt vmcnt(8)
	v_lshrrev_b32_e32 v10, 16, v6
	s_waitcnt vmcnt(7)
	v_mul_f16_sdwa v11, v41, v6 dst_sel:DWORD dst_unused:UNUSED_PAD src0_sel:WORD_1 src1_sel:DWORD
	v_fma_f16 v4, v41, v10, -v11
	v_mul_f16_sdwa v10, v41, v10 dst_sel:DWORD dst_unused:UNUSED_PAD src0_sel:WORD_1 src1_sel:DWORD
	v_fma_f16 v3, v41, v6, v10
	v_pack_b32_f16 v3, v3, v4
	ds_write_b32 v35, v3 offset:2156
	s_waitcnt vmcnt(6)
	v_lshrrev_b32_e32 v11, 16, v7
	v_mul_f16_sdwa v12, v39, v7 dst_sel:DWORD dst_unused:UNUSED_PAD src0_sel:WORD_1 src1_sel:DWORD
	v_mul_f16_sdwa v10, v39, v11 dst_sel:DWORD dst_unused:UNUSED_PAD src0_sel:WORD_1 src1_sel:DWORD
	v_fma_f16 v6, v39, v11, -v12
	v_fma_f16 v4, v39, v7, v10
	s_waitcnt vmcnt(5)
	v_lshrrev_b32_e32 v11, 16, v8
	s_waitcnt vmcnt(4)
	v_mul_f16_sdwa v12, v38, v8 dst_sel:DWORD dst_unused:UNUSED_PAD src0_sel:WORD_1 src1_sel:DWORD
	v_mul_f16_sdwa v7, v38, v11 dst_sel:DWORD dst_unused:UNUSED_PAD src0_sel:WORD_1 src1_sel:DWORD
	v_pack_b32_f16 v3, v4, v6
	v_fma_f16 v4, v38, v8, v7
	ds_write_b32 v35, v3 offset:4312
	v_fma_f16 v3, v38, v11, -v12
	v_pack_b32_f16 v3, v4, v3
	ds_write2_b32 v35, v2, v3 offset1:231
	s_waitcnt vmcnt(3)
	v_lshrrev_b32_e32 v2, 16, v9
	s_waitcnt vmcnt(2)
	v_mul_f16_sdwa v3, v37, v2 dst_sel:DWORD dst_unused:UNUSED_PAD src0_sel:WORD_1 src1_sel:DWORD
	v_mul_f16_sdwa v4, v37, v9 dst_sel:DWORD dst_unused:UNUSED_PAD src0_sel:WORD_1 src1_sel:DWORD
	v_fma_f16 v3, v37, v9, v3
	v_fma_f16 v2, v37, v2, -v4
	v_pack_b32_f16 v2, v3, v2
	ds_write_b32 v35, v2 offset:3080
	s_waitcnt vmcnt(1)
	v_lshrrev_b32_e32 v2, 16, v5
	s_waitcnt vmcnt(0)
	v_mul_f16_sdwa v3, v36, v2 dst_sel:DWORD dst_unused:UNUSED_PAD src0_sel:WORD_1 src1_sel:DWORD
	v_mul_f16_sdwa v4, v36, v5 dst_sel:DWORD dst_unused:UNUSED_PAD src0_sel:WORD_1 src1_sel:DWORD
	v_fma_f16 v3, v36, v5, v3
	v_fma_f16 v2, v36, v2, -v4
	v_pack_b32_f16 v2, v3, v2
	ds_write_b32 v35, v2 offset:5236
	s_and_saveexec_b64 s[14:15], s[0:1]
	s_cbranch_execz .LBB0_3
; %bb.2:
	v_mov_b32_e32 v2, s19
	v_add_co_u32_e32 v0, vcc, s18, v0
	v_addc_co_u32_e32 v1, vcc, v1, v2, vcc
	global_load_dword v2, v[0:1], off
	v_mov_b32_e32 v3, s13
	v_add_co_u32_e32 v0, vcc, s12, v0
	v_addc_co_u32_e32 v1, vcc, v1, v3, vcc
	global_load_dword v4, v[0:1], off
	global_load_dword v5, v[16:17], off offset:1848
	global_load_dword v6, v[16:17], off offset:4004
	v_add_co_u32_e32 v0, vcc, s12, v0
	v_addc_co_u32_e32 v1, vcc, v1, v3, vcc
	global_load_dword v3, v[0:1], off
	v_add_co_u32_e32 v0, vcc, 0x1000, v16
	v_addc_co_u32_e32 v1, vcc, 0, v17, vcc
	global_load_dword v0, v[0:1], off offset:2064
	s_waitcnt vmcnt(5)
	v_lshrrev_b32_e32 v1, 16, v2
	s_waitcnt vmcnt(3)
	v_mul_f16_sdwa v7, v5, v2 dst_sel:DWORD dst_unused:UNUSED_PAD src0_sel:WORD_1 src1_sel:DWORD
	v_mul_f16_sdwa v8, v5, v1 dst_sel:DWORD dst_unused:UNUSED_PAD src0_sel:WORD_1 src1_sel:DWORD
	v_fma_f16 v1, v5, v1, -v7
	v_lshrrev_b32_e32 v7, 16, v4
	s_waitcnt vmcnt(2)
	v_mul_f16_sdwa v9, v6, v4 dst_sel:DWORD dst_unused:UNUSED_PAD src0_sel:WORD_1 src1_sel:DWORD
	v_fma_f16 v2, v5, v2, v8
	v_mul_f16_sdwa v5, v6, v7 dst_sel:DWORD dst_unused:UNUSED_PAD src0_sel:WORD_1 src1_sel:DWORD
	s_waitcnt vmcnt(1)
	v_lshrrev_b32_e32 v8, 16, v3
	v_fma_f16 v7, v6, v7, -v9
	v_pack_b32_f16 v1, v2, v1
	v_fma_f16 v2, v6, v4, v5
	s_waitcnt vmcnt(0)
	v_mul_f16_sdwa v9, v0, v3 dst_sel:DWORD dst_unused:UNUSED_PAD src0_sel:WORD_1 src1_sel:DWORD
	v_mul_f16_sdwa v4, v0, v8 dst_sel:DWORD dst_unused:UNUSED_PAD src0_sel:WORD_1 src1_sel:DWORD
	v_fma_f16 v5, v0, v8, -v9
	v_fma_f16 v0, v0, v3, v4
	ds_write_b32 v35, v1 offset:1848
	v_pack_b32_f16 v1, v2, v7
	v_pack_b32_f16 v0, v0, v5
	ds_write_b32 v35, v1 offset:4004
	ds_write_b32 v35, v0 offset:6160
.LBB0_3:
	s_or_b64 exec, exec, s[14:15]
	v_add_u32_e32 v2, 0x840, v35
	v_add_u32_e32 v4, 0x1080, v35
	s_load_dwordx2 s[12:13], s[4:5], 0x8
	s_waitcnt lgkmcnt(0)
	s_barrier
	ds_read2_b32 v[0:1], v35 offset1:231
	ds_read2_b32 v[2:3], v2 offset0:11 offset1:242
	ds_read2_b32 v[4:5], v4 offset0:22 offset1:253
                                        ; implicit-def: $vgpr6
                                        ; implicit-def: $vgpr7
                                        ; implicit-def: $vgpr8
	s_and_saveexec_b64 s[4:5], s[0:1]
	s_cbranch_execz .LBB0_5
; %bb.4:
	ds_read_b32 v6, v35 offset:1848
	ds_read_b32 v7, v35 offset:4004
	;; [unrolled: 1-line block ×3, first 2 shown]
.LBB0_5:
	s_or_b64 exec, exec, s[4:5]
	v_mul_lo_u16_e32 v15, 3, v40
	s_waitcnt lgkmcnt(1)
	v_pk_add_f16 v11, v0, v2
	s_movk_i32 s4, 0x3aee
	v_lshlrev_b32_e32 v43, 2, v15
	s_waitcnt lgkmcnt(0)
	v_pk_add_f16 v15, v2, v4
	v_pk_add_f16 v2, v2, v4 neg_lo:[0,1] neg_hi:[0,1]
	v_pk_fma_f16 v0, v15, 0.5, v0 op_sel_hi:[1,0,1] neg_lo:[1,0,0] neg_hi:[1,0,0]
	v_pk_mul_f16 v2, v2, s4 op_sel_hi:[1,0]
	v_pk_add_f16 v11, v11, v4
	v_pk_add_f16 v4, v0, v2 op_sel:[0,1] op_sel_hi:[1,0]
	v_pk_add_f16 v0, v0, v2 op_sel:[0,1] op_sel_hi:[1,0] neg_lo:[0,1] neg_hi:[0,1]
	s_mov_b32 s14, 0xffff
	v_bfi_b32 v2, s14, v4, v0
	s_barrier
	ds_write2_b32 v43, v11, v2 offset1:1
	v_pk_add_f16 v2, v3, v5
	v_pk_add_f16 v12, v1, v3
	v_pk_fma_f16 v1, v2, 0.5, v1 op_sel_hi:[1,0,1] neg_lo:[1,0,0] neg_hi:[1,0,0]
	v_pk_add_f16 v2, v3, v5 neg_lo:[0,1] neg_hi:[0,1]
	v_add_u32_e32 v9, 0xe7, v40
	v_pk_add_f16 v13, v7, v8
	v_pk_add_f16 v14, v7, v8 neg_lo:[0,1] neg_hi:[0,1]
	v_bfi_b32 v0, s14, v0, v4
	v_pk_mul_f16 v2, v2, s4 op_sel_hi:[1,0]
	v_pk_fma_f16 v13, v13, 0.5, v6 op_sel_hi:[1,0,1] neg_lo:[1,0,0] neg_hi:[1,0,0]
	v_pk_mul_f16 v14, v14, s4 op_sel_hi:[1,0]
	ds_write_b32 v43, v0 offset:8
	v_mul_u32_u24_e32 v0, 3, v9
	v_pk_add_f16 v3, v1, v2 op_sel:[0,1] op_sel_hi:[1,0]
	v_pk_add_f16 v1, v1, v2 op_sel:[0,1] op_sel_hi:[1,0] neg_lo:[0,1] neg_hi:[0,1]
	v_add_co_u32_e32 v10, vcc, 0x1ce, v40
	v_pk_add_f16 v26, v13, v14 op_sel:[0,1] op_sel_hi:[1,0]
	v_lshlrev_b32_e32 v44, 2, v0
	v_pk_add_f16 v0, v12, v5
	v_bfi_b32 v2, s14, v3, v1
	v_pk_add_f16 v27, v13, v14 op_sel:[0,1] op_sel_hi:[1,0] neg_lo:[0,1] neg_hi:[0,1]
	v_lshrrev_b32_e32 v48, 16, v26
	ds_write2_b32 v44, v0, v2 offset1:1
	v_bfi_b32 v0, s14, v1, v3
	v_mul_u32_u24_e32 v45, 3, v10
	ds_write_b32 v44, v0 offset:8
	s_and_saveexec_b64 s[4:5], s[0:1]
	s_cbranch_execz .LBB0_7
; %bb.6:
	v_pk_add_f16 v1, v6, v7
	v_lshlrev_b32_e32 v0, 2, v45
	v_pk_add_f16 v1, v1, v8
	ds_write_b32 v0, v1
	v_bfi_b32 v1, s14, v26, v27
	s_mov_b32 s14, 0x5040100
	v_perm_b32 v2, v48, v27, s14
	ds_write2_b32 v0, v1, v2 offset0:1 offset1:2
.LBB0_7:
	s_or_b64 exec, exec, s[4:5]
	s_movk_i32 s4, 0xab
	v_mul_lo_u16_sdwa v0, v40, s4 dst_sel:DWORD dst_unused:UNUSED_PAD src0_sel:BYTE_0 src1_sel:DWORD
	v_lshrrev_b16_e32 v10, 9, v0
	v_mul_lo_u16_e32 v0, 3, v10
	v_sub_u16_e32 v0, v40, v0
	v_and_b32_e32 v11, 0xff, v0
	v_mul_u32_u24_e32 v0, 6, v11
	v_lshlrev_b32_e32 v4, 2, v0
	s_waitcnt lgkmcnt(0)
	s_barrier
	global_load_dwordx4 v[0:3], v4, s[12:13]
	global_load_dwordx2 v[19:20], v4, s[12:13] offset:16
	v_add_u32_e32 v12, 0x700, v35
	v_add_u32_e32 v13, 0xe40, v35
	ds_read_b32 v14, v35 offset:5544
	ds_read2_b32 v[4:5], v35 offset1:231
	ds_read2_b32 v[6:7], v12 offset0:14 offset1:245
	ds_read2_b32 v[8:9], v13 offset0:12 offset1:243
	s_movk_i32 s5, 0x2b26
	s_waitcnt lgkmcnt(3)
	v_lshrrev_b32_e32 v15, 16, v14
	s_waitcnt lgkmcnt(2)
	v_lshrrev_b32_e32 v21, 16, v5
	;; [unrolled: 2-line block ×3, first 2 shown]
	v_lshrrev_b32_e32 v23, 16, v7
	s_waitcnt lgkmcnt(0)
	v_lshrrev_b32_e32 v24, 16, v8
	v_lshrrev_b32_e32 v25, 16, v9
	s_movk_i32 s4, 0x39e0
	s_mov_b32 s14, 0xb9e0
	s_movk_i32 s15, 0x3b00
	s_movk_i32 s18, 0x3574
	s_mov_b32 s16, 0xb574
	s_mov_b32 s20, 0xbcab
	s_movk_i32 s19, 0x370e
	v_mul_u32_u24_e32 v10, 21, v10
	s_waitcnt vmcnt(0)
	s_barrier
	s_movk_i32 s21, 0x87
                                        ; implicit-def: $vgpr60
                                        ; implicit-def: $vgpr70
	v_mul_f16_sdwa v28, v22, v1 dst_sel:DWORD dst_unused:UNUSED_PAD src0_sel:DWORD src1_sel:WORD_1
	v_mul_f16_sdwa v29, v6, v1 dst_sel:DWORD dst_unused:UNUSED_PAD src0_sel:DWORD src1_sel:WORD_1
	;; [unrolled: 1-line block ×12, first 2 shown]
	v_fma_f16 v6, v6, v1, -v28
	v_fma_f16 v7, v7, v2, -v30
	;; [unrolled: 1-line block ×4, first 2 shown]
	v_fma_f16 v22, v22, v1, v29
	v_fma_f16 v23, v23, v2, v31
	;; [unrolled: 1-line block ×4, first 2 shown]
	v_fma_f16 v14, v14, v20, -v47
	v_fma_f16 v15, v15, v20, v49
	v_fma_f16 v21, v21, v0, v50
	v_fma_f16 v5, v5, v0, -v51
	v_add_f16_e32 v28, v5, v14
	v_sub_f16_e32 v5, v5, v14
	v_add_f16_e32 v14, v21, v15
	v_sub_f16_e32 v15, v21, v15
	v_add_f16_e32 v21, v6, v9
	v_sub_f16_e32 v6, v6, v9
	v_add_f16_e32 v9, v22, v25
	v_sub_f16_e32 v22, v22, v25
	v_add_f16_e32 v25, v7, v8
	v_sub_f16_e32 v7, v8, v7
	v_add_f16_e32 v8, v23, v24
	v_sub_f16_e32 v23, v24, v23
	v_add_f16_e32 v24, v21, v28
	v_sub_f16_e32 v29, v21, v28
	v_sub_f16_e32 v28, v28, v25
	v_sub_f16_e32 v21, v25, v21
	v_add_f16_e32 v30, v9, v14
	v_sub_f16_e32 v31, v9, v14
	v_sub_f16_e32 v14, v14, v8
	;; [unrolled: 1-line block ×3, first 2 shown]
	v_add_f16_e32 v32, v7, v6
	v_sub_f16_e32 v33, v7, v6
	v_sub_f16_e32 v6, v6, v5
	v_add_f16_e32 v24, v25, v24
	v_add_f16_e32 v8, v8, v30
	v_mul_f16_e32 v25, 0x3a52, v28
	v_mul_f16_e32 v28, 0x2b26, v21
	;; [unrolled: 1-line block ×4, first 2 shown]
	v_sub_f16_e32 v7, v5, v7
	v_add_f16_e32 v34, v23, v22
	v_sub_f16_e32 v46, v23, v22
	v_sub_f16_e32 v22, v22, v15
	v_fma_f16 v21, v21, s5, v25
	v_fma_f16 v28, v29, s4, -v28
	v_fma_f16 v25, v29, s14, -v25
	v_fma_f16 v9, v9, s5, v14
	v_fma_f16 v29, v31, s4, -v30
	v_fma_f16 v14, v31, s14, -v14
	v_mul_f16_e32 v30, 0xb846, v33
	v_mul_f16_e32 v31, 0x3b00, v6
	v_sub_f16_e32 v23, v15, v23
	v_add_f16_e32 v5, v32, v5
	v_add_f16_e32 v32, v4, v24
	v_add_f16_sdwa v4, v4, v8 dst_sel:DWORD dst_unused:UNUSED_PAD src0_sel:WORD_1 src1_sel:DWORD
	v_fma_f16 v6, v6, s15, -v30
	v_fma_f16 v30, v7, s18, v30
	v_fma_f16 v7, v7, s16, -v31
	v_mul_f16_e32 v31, 0xb846, v46
	v_mul_f16_e32 v33, 0x3b00, v22
	v_add_f16_e32 v15, v34, v15
	v_fma_f16 v22, v22, s15, -v31
	v_fma_f16 v31, v23, s18, v31
	v_fma_f16 v23, v23, s16, -v33
	v_fma_f16 v24, v24, s20, v32
	v_fma_f16 v8, v8, s20, v4
	v_add_f16_e32 v21, v21, v24
	v_add_f16_e32 v28, v28, v24
	;; [unrolled: 1-line block ×6, first 2 shown]
	v_fma_f16 v14, v5, s19, v30
	v_fma_f16 v6, v5, s19, v6
	;; [unrolled: 1-line block ×6, first 2 shown]
	v_sub_f16_e32 v23, v28, v22
	v_add_f16_e32 v22, v22, v28
	v_add_f16_e32 v28, v6, v25
	v_sub_f16_e32 v6, v25, v6
	v_add_f16_e32 v25, v15, v24
	v_sub_f16_e32 v15, v24, v15
	v_sub_f16_e32 v24, v8, v5
	v_add_f16_e32 v5, v5, v8
	v_add_f16_e32 v8, v7, v21
	v_sub_f16_e32 v7, v21, v7
	v_sub_f16_e32 v21, v9, v14
	v_add_lshl_u32 v46, v10, v11, 2
	v_pack_b32_f16 v4, v32, v4
	v_pack_b32_f16 v8, v8, v21
	ds_write2_b32 v46, v4, v8 offset1:3
	v_pack_b32_f16 v4, v25, v24
	v_pack_b32_f16 v8, v23, v28
	v_add_f16_e32 v9, v14, v9
	ds_write2_b32 v46, v4, v8 offset0:6 offset1:9
	v_pack_b32_f16 v4, v22, v6
	v_pack_b32_f16 v5, v15, v5
	ds_write2_b32 v46, v4, v5 offset0:12 offset1:15
	v_pack_b32_f16 v4, v7, v9
	ds_write_b32 v46, v4 offset:72
	v_mul_lo_u16_sdwa v4, v40, s21 dst_sel:DWORD dst_unused:UNUSED_PAD src0_sel:BYTE_0 src1_sel:DWORD
	v_sub_u16_sdwa v5, v40, v4 dst_sel:DWORD dst_unused:UNUSED_PAD src0_sel:DWORD src1_sel:BYTE_1
	v_lshrrev_b16_e32 v5, 1, v5
	v_and_b32_e32 v5, 0x7f, v5
	v_add_u16_sdwa v4, v5, v4 dst_sel:DWORD dst_unused:UNUSED_PAD src0_sel:DWORD src1_sel:BYTE_1
	v_lshrrev_b16_e32 v4, 4, v4
	v_and_b32_e32 v14, 15, v4
	v_mul_lo_u16_e32 v4, 21, v14
	v_sub_u16_e32 v4, v40, v4
	v_and_b32_e32 v15, 0xff, v4
	v_mad_u64_u32 v[8:9], s[22:23], v15, 24, s[12:13]
	s_waitcnt lgkmcnt(0)
	s_barrier
	global_load_dwordx4 v[4:7], v[8:9], off offset:72
	global_load_dwordx2 v[21:22], v[8:9], off offset:88
	ds_read2_b32 v[8:9], v12 offset0:14 offset1:245
	ds_read2_b32 v[10:11], v13 offset0:12 offset1:243
	s_movk_i32 s21, 0x93
	s_waitcnt lgkmcnt(1)
	v_lshrrev_b32_e32 v12, 16, v8
	v_lshrrev_b32_e32 v13, 16, v9
	s_waitcnt vmcnt(1)
	v_mul_f16_sdwa v23, v12, v5 dst_sel:DWORD dst_unused:UNUSED_PAD src0_sel:DWORD src1_sel:WORD_1
	v_mul_f16_sdwa v24, v8, v5 dst_sel:DWORD dst_unused:UNUSED_PAD src0_sel:DWORD src1_sel:WORD_1
	;; [unrolled: 1-line block ×3, first 2 shown]
	v_fma_f16 v23, v8, v5, -v23
	v_mul_f16_sdwa v8, v9, v6 dst_sel:DWORD dst_unused:UNUSED_PAD src0_sel:DWORD src1_sel:WORD_1
	v_fma_f16 v12, v12, v5, v24
	v_fma_f16 v24, v9, v6, -v25
	v_fma_f16 v13, v13, v6, v8
	s_waitcnt lgkmcnt(0)
	v_lshrrev_b32_e32 v8, 16, v10
	v_mul_f16_sdwa v9, v10, v7 dst_sel:DWORD dst_unused:UNUSED_PAD src0_sel:DWORD src1_sel:WORD_1
	v_fma_f16 v28, v8, v7, v9
	v_mul_f16_sdwa v8, v8, v7 dst_sel:DWORD dst_unused:UNUSED_PAD src0_sel:DWORD src1_sel:WORD_1
	v_fma_f16 v10, v10, v7, -v8
	v_lshrrev_b32_e32 v8, 16, v11
	ds_read_b32 v25, v35 offset:5544
	s_waitcnt vmcnt(0)
	v_mul_f16_sdwa v9, v8, v21 dst_sel:DWORD dst_unused:UNUSED_PAD src0_sel:DWORD src1_sel:WORD_1
	v_fma_f16 v47, v11, v21, -v9
	v_mul_f16_sdwa v9, v11, v21 dst_sel:DWORD dst_unused:UNUSED_PAD src0_sel:DWORD src1_sel:WORD_1
	v_fma_f16 v11, v8, v21, v9
	ds_read2_b32 v[8:9], v35 offset1:231
	s_waitcnt lgkmcnt(1)
	v_lshrrev_b32_e32 v29, 16, v25
	v_mul_f16_sdwa v30, v29, v22 dst_sel:DWORD dst_unused:UNUSED_PAD src0_sel:DWORD src1_sel:WORD_1
	v_fma_f16 v49, v25, v22, -v30
	v_mul_f16_sdwa v25, v25, v22 dst_sel:DWORD dst_unused:UNUSED_PAD src0_sel:DWORD src1_sel:WORD_1
	v_fma_f16 v50, v29, v22, v25
	s_waitcnt lgkmcnt(0)
	v_lshrrev_b32_e32 v25, 16, v9
	v_mul_f16_sdwa v29, v9, v4 dst_sel:DWORD dst_unused:UNUSED_PAD src0_sel:DWORD src1_sel:WORD_1
	v_fma_f16 v51, v25, v4, v29
	v_mul_f16_sdwa v25, v25, v4 dst_sel:DWORD dst_unused:UNUSED_PAD src0_sel:DWORD src1_sel:WORD_1
	v_fma_f16 v9, v9, v4, -v25
	v_add_f16_e32 v25, v9, v49
	v_add_f16_e32 v29, v23, v47
	;; [unrolled: 1-line block ×4, first 2 shown]
	v_sub_f16_e32 v32, v29, v25
	v_sub_f16_e32 v25, v25, v30
	;; [unrolled: 1-line block ×3, first 2 shown]
	v_add_f16_e32 v30, v30, v31
	v_sub_f16_e32 v29, v51, v50
	v_sub_f16_e32 v31, v12, v11
	v_add_f16_e32 v50, v51, v50
	v_add_f16_e32 v11, v12, v11
	v_sub_f16_e32 v33, v28, v13
	v_sub_f16_e32 v12, v23, v47
	v_add_f16_e32 v13, v13, v28
	v_add_f16_e32 v23, v11, v50
	;; [unrolled: 1-line block ×4, first 2 shown]
	v_sub_f16_e32 v53, v33, v31
	v_sub_f16_e32 v54, v29, v33
	;; [unrolled: 1-line block ×3, first 2 shown]
	v_add_f16_e32 v55, v34, v29
	v_add_f16_e32 v29, v8, v30
	v_sub_f16_e32 v10, v10, v24
	v_add_f16_sdwa v51, v8, v23 dst_sel:DWORD dst_unused:UNUSED_PAD src0_sel:WORD_1 src1_sel:DWORD
	v_mul_u32_u24_sdwa v8, v14, s21 dst_sel:DWORD dst_unused:UNUSED_PAD src0_sel:WORD_0 src1_sel:DWORD
	v_sub_f16_e32 v9, v9, v49
	v_add_lshl_u32 v47, v8, v15, 2
	v_sub_f16_e32 v8, v50, v13
	v_sub_f16_e32 v15, v10, v12
	v_mul_f16_e32 v25, 0x3a52, v25
	v_mul_f16_e32 v53, 0xb846, v53
	;; [unrolled: 1-line block ×3, first 2 shown]
	v_sub_f16_e32 v13, v13, v11
	v_add_f16_e32 v14, v10, v12
	v_sub_f16_e32 v10, v9, v10
	v_mul_f16_e32 v8, 0x3a52, v8
	v_mul_f16_e32 v15, 0xb846, v15
	v_fma_f16 v30, v30, s20, v29
	v_fma_f16 v33, v32, s4, -v33
	v_fma_f16 v32, v32, s14, -v25
	v_fma_f16 v25, v52, s5, v25
	v_fma_f16 v52, v54, s18, v53
	v_add_f16_e32 v14, v14, v9
	v_fma_f16 v23, v23, s20, v51
	v_fma_f16 v24, v13, s5, v8
	;; [unrolled: 1-line block ×3, first 2 shown]
	v_sub_f16_e32 v11, v11, v50
	v_sub_f16_e32 v9, v12, v9
	v_mul_f16_e32 v12, 0x2b26, v13
	v_mul_f16_e32 v34, 0x3b00, v31
	v_add_f16_e32 v25, v25, v30
	v_fma_f16 v52, v55, s19, v52
	v_add_f16_e32 v24, v24, v23
	v_fma_f16 v28, v14, s19, v28
	v_fma_f16 v12, v11, s4, -v12
	v_fma_f16 v8, v11, s14, -v8
	v_fma_f16 v11, v9, s15, -v15
	v_mul_f16_e32 v9, 0x3b00, v9
	v_fma_f16 v31, v31, s15, -v53
	v_fma_f16 v34, v54, s16, -v34
	v_add_f16_e32 v33, v33, v30
	v_add_f16_e32 v56, v32, v30
	v_add_f16_e32 v30, v52, v25
	v_sub_f16_e32 v49, v24, v28
	v_fma_f16 v9, v10, s16, -v9
	v_fma_f16 v57, v55, s19, v31
	v_fma_f16 v34, v55, s19, v34
	v_sub_f16_e32 v25, v25, v52
	v_pack_b32_f16 v52, v29, v51
	v_pack_b32_f16 v53, v30, v49
	v_add_f16_e32 v10, v12, v23
	v_add_f16_e32 v8, v8, v23
	v_fma_f16 v11, v14, s19, v11
	v_fma_f16 v9, v14, s19, v9
	v_add_f16_e32 v31, v34, v56
	v_sub_f16_e32 v32, v33, v57
	v_add_f16_e32 v33, v57, v33
	v_sub_f16_e32 v34, v56, v34
	s_barrier
	ds_write2_b32 v47, v52, v53 offset1:21
	v_sub_f16_e32 v53, v10, v11
	v_add_f16_e32 v54, v9, v8
	v_sub_f16_e32 v52, v8, v9
	v_add_f16_e32 v50, v11, v10
	v_pack_b32_f16 v8, v33, v53
	v_pack_b32_f16 v9, v34, v54
	v_add_f16_e32 v55, v28, v24
	v_pack_b32_f16 v12, v31, v52
	v_pack_b32_f16 v13, v32, v50
	ds_write2_b32 v47, v8, v9 offset0:84 offset1:105
	v_pack_b32_f16 v8, v25, v55
	v_cmp_gt_u16_e64 s[4:5], s21, v40
	v_lshrrev_b32_e32 v56, 16, v27
	ds_write2_b32 v47, v12, v13 offset0:42 offset1:63
	ds_write_b32 v47, v8 offset:504
	s_waitcnt lgkmcnt(0)
	s_barrier
	s_waitcnt lgkmcnt(0)
                                        ; implicit-def: $vgpr57
	s_and_saveexec_b64 s[14:15], s[4:5]
	s_cbranch_execz .LBB0_9
; %bb.8:
	v_add_u32_e32 v8, 0x400, v35
	ds_read2_b32 v[31:32], v8 offset0:38 offset1:185
	v_add_u32_e32 v8, 0x800, v35
	ds_read2_b32 v[33:34], v8 offset0:76 offset1:223
	;; [unrolled: 2-line block ×3, first 2 shown]
	v_add_u32_e32 v8, 0x1200, v35
	ds_read2_b32 v[29:30], v35 offset1:147
	ds_read2_b32 v[27:28], v8 offset0:24 offset1:171
	ds_read_b32 v57, v35 offset:5880
	s_waitcnt lgkmcnt(5)
	v_lshrrev_b32_e32 v52, 16, v31
	v_lshrrev_b32_e32 v50, 16, v32
	s_waitcnt lgkmcnt(2)
	v_lshrrev_b32_e32 v51, 16, v29
	v_lshrrev_b32_e32 v49, 16, v30
	;; [unrolled: 1-line block ×6, first 2 shown]
	s_waitcnt lgkmcnt(1)
	v_lshrrev_b32_e32 v48, 16, v27
	v_lshrrev_b32_e32 v60, 16, v28
	s_waitcnt lgkmcnt(0)
	v_lshrrev_b32_e32 v70, 16, v57
.LBB0_9:
	s_or_b64 exec, exec, s[14:15]
	v_add_u32_e32 v8, 0xffffff6d, v40
	v_cndmask_b32_e64 v8, v8, v40, s[4:5]
	v_mul_hi_i32_i24_e32 v9, 40, v8
	v_mul_i32_i24_e32 v8, 40, v8
	v_mov_b32_e32 v10, s13
	v_add_co_u32_e32 v58, vcc, s12, v8
	v_addc_co_u32_e32 v59, vcc, v10, v9, vcc
	global_load_dwordx4 v[8:11], v[58:59], off offset:576
	global_load_dwordx4 v[12:15], v[58:59], off offset:592
	global_load_dwordx2 v[23:24], v[58:59], off offset:608
	s_movk_i32 s12, 0x3abb
	s_movk_i32 s13, 0x36a6
	s_mov_b32 s14, 0xb08e
	s_mov_b32 s15, 0xb93d
	;; [unrolled: 1-line block ×3, first 2 shown]
	s_waitcnt vmcnt(2)
	v_mul_f16_sdwa v58, v49, v8 dst_sel:DWORD dst_unused:UNUSED_PAD src0_sel:DWORD src1_sel:WORD_1
	v_mul_f16_sdwa v61, v30, v8 dst_sel:DWORD dst_unused:UNUSED_PAD src0_sel:DWORD src1_sel:WORD_1
	;; [unrolled: 1-line block ×4, first 2 shown]
	s_waitcnt vmcnt(1)
	v_mul_f16_sdwa v68, v54, v12 dst_sel:DWORD dst_unused:UNUSED_PAD src0_sel:DWORD src1_sel:WORD_1
	v_mul_f16_sdwa v69, v34, v12 dst_sel:DWORD dst_unused:UNUSED_PAD src0_sel:DWORD src1_sel:WORD_1
	s_waitcnt vmcnt(0)
	v_mul_f16_sdwa v77, v60, v23 dst_sel:DWORD dst_unused:UNUSED_PAD src0_sel:DWORD src1_sel:WORD_1
	v_mul_f16_sdwa v78, v28, v23 dst_sel:DWORD dst_unused:UNUSED_PAD src0_sel:DWORD src1_sel:WORD_1
	;; [unrolled: 1-line block ×10, first 2 shown]
	v_fma_f16 v59, v30, v8, -v58
	v_fma_f16 v30, v49, v8, v61
	v_fma_f16 v61, v31, v9, -v62
	v_fma_f16 v62, v32, v10, -v64
	v_fma_f16 v64, v34, v12, -v68
	v_fma_f16 v34, v54, v12, v69
	v_fma_f16 v68, v28, v23, -v77
	v_fma_f16 v28, v60, v23, v78
	v_fma_f16 v69, v57, v24, -v79
	v_fma_f16 v60, v70, v24, v80
	v_mul_f16_sdwa v65, v32, v10 dst_sel:DWORD dst_unused:UNUSED_PAD src0_sel:DWORD src1_sel:WORD_1
	v_mul_f16_sdwa v71, v55, v13 dst_sel:DWORD dst_unused:UNUSED_PAD src0_sel:DWORD src1_sel:WORD_1
	;; [unrolled: 1-line block ×4, first 2 shown]
	v_fma_f16 v31, v52, v9, v63
	v_fma_f16 v63, v33, v11, -v66
	v_fma_f16 v33, v53, v11, v67
	v_fma_f16 v66, v26, v14, -v73
	v_fma_f16 v67, v27, v15, -v75
	v_fma_f16 v27, v48, v15, v76
	v_sub_f16_e32 v26, v59, v69
	v_sub_f16_e32 v48, v30, v60
	v_fma_f16 v32, v50, v10, v65
	v_fma_f16 v65, v25, v13, -v71
	v_fma_f16 v25, v55, v13, v72
	v_add_f16_e32 v89, v59, v69
	v_add_f16_e32 v90, v30, v60
	v_sub_f16_e32 v49, v61, v68
	v_sub_f16_e32 v50, v31, v28
	v_mul_f16_e32 v70, 0xb853, v48
	v_mul_f16_e32 v72, 0xb853, v26
	v_add_f16_e32 v91, v61, v68
	v_add_f16_e32 v92, v31, v28
	v_mul_f16_e32 v76, 0xbb47, v26
	v_mul_f16_e32 v71, 0xbb47, v50
	v_mul_f16_e32 v73, 0xbb47, v49
	v_fma_f16 v52, v89, s12, v70
	v_fma_f16 v53, v90, s12, -v72
	v_mul_f16_e32 v78, 0xbbeb, v48
	v_mul_f16_e32 v77, 0xba0c, v49
	v_fma_f16 v55, v90, s13, -v76
	v_fma_f16 v80, v91, s13, v71
	v_fma_f16 v81, v92, s13, -v73
	v_add_f16_e32 v52, v29, v52
	v_add_f16_e32 v53, v51, v53
	v_fma_f16 v58, v56, v14, v74
	v_mul_f16_e32 v79, 0xbbeb, v26
	v_fma_f16 v56, v89, s14, v78
	v_add_f16_e32 v55, v51, v55
	v_add_f16_e32 v52, v80, v52
	;; [unrolled: 1-line block ×3, first 2 shown]
	v_fma_f16 v80, v92, s15, -v77
	v_mul_f16_e32 v81, 0x3482, v50
	v_mul_f16_e32 v74, 0xbb47, v48
	v_fma_f16 v57, v90, s14, -v79
	v_add_f16_e32 v56, v29, v56
	v_add_f16_e32 v55, v80, v55
	v_fma_f16 v80, v91, s16, v81
	v_mul_f16_e32 v83, 0x3482, v49
	v_mul_f16_e32 v75, 0xba0c, v50
	v_fma_f16 v54, v89, s13, v74
	v_add_f16_e32 v57, v51, v57
	v_add_f16_e32 v56, v80, v56
	v_fma_f16 v80, v92, s16, -v83
	v_mul_f16_e32 v85, 0xba0c, v48
	v_fma_f16 v82, v91, s15, v75
	v_add_f16_e32 v54, v29, v54
	v_add_f16_e32 v57, v80, v57
	v_fma_f16 v80, v89, s15, v85
	v_mul_f16_e32 v86, 0x3beb, v50
	v_mul_f16_e32 v104, 0xb482, v26
	v_add_f16_e32 v54, v82, v54
	v_add_f16_e32 v80, v29, v80
	v_fma_f16 v82, v91, s14, v86
	v_mul_f16_e32 v93, 0xba0c, v26
	v_fma_f16 v26, v90, s16, -v104
	v_mul_f16_e32 v105, 0x3853, v49
	v_add_f16_e32 v87, v82, v80
	v_fma_f16 v80, v90, s15, -v93
	v_mul_f16_e32 v94, 0x3beb, v49
	v_mul_f16_e32 v97, 0xb482, v48
	v_add_f16_e32 v26, v51, v26
	v_fma_f16 v49, v92, s12, -v105
	v_add_f16_e32 v80, v51, v80
	v_fma_f16 v82, v92, s14, -v94
	v_fma_f16 v48, v89, s16, v97
	v_mul_f16_e32 v98, 0x3853, v50
	v_add_f16_e32 v26, v49, v26
	v_sub_f16_e32 v49, v32, v27
	v_add_f16_e32 v95, v82, v80
	v_add_f16_e32 v48, v29, v48
	v_fma_f16 v50, v91, s12, v98
	v_add_f16_e32 v111, v62, v67
	v_mul_f16_e32 v80, 0xbbeb, v49
	v_add_f16_e32 v48, v50, v48
	v_fma_f16 v50, v111, s14, v80
	v_add_f16_e32 v50, v50, v52
	v_sub_f16_e32 v52, v62, v67
	v_add_f16_e32 v113, v32, v27
	v_mul_f16_e32 v82, 0xbbeb, v52
	v_fma_f16 v84, v113, s14, -v82
	v_add_f16_e32 v53, v84, v53
	v_mul_f16_e32 v84, 0x3482, v49
	v_fma_f16 v88, v111, s16, v84
	v_add_f16_e32 v54, v88, v54
	v_mul_f16_e32 v88, 0x3482, v52
	v_fma_f16 v96, v113, s16, -v88
	v_add_f16_e32 v55, v96, v55
	v_mul_f16_e32 v96, 0x3b47, v49
	v_fma_f16 v99, v111, s13, v96
	v_mul_f16_e32 v100, 0x3b47, v52
	v_mul_f16_e32 v110, 0xba0c, v49
	v_add_f16_e32 v56, v99, v56
	v_fma_f16 v99, v113, s13, -v100
	v_mul_f16_e32 v103, 0xb853, v49
	v_fma_f16 v49, v111, s15, v110
	v_mul_f16_e32 v115, 0xba0c, v52
	v_add_f16_e32 v57, v99, v57
	v_fma_f16 v99, v111, s12, v103
	v_mul_f16_e32 v108, 0xb853, v52
	v_add_f16_e32 v48, v49, v48
	v_fma_f16 v49, v113, s15, -v115
	v_add_f16_e32 v101, v99, v87
	v_fma_f16 v87, v113, s12, -v108
	v_add_f16_e32 v26, v49, v26
	v_sub_f16_e32 v49, v33, v58
	v_add_f16_e32 v106, v87, v95
	v_add_f16_e32 v119, v63, v66
	v_mul_f16_e32 v87, 0xba0c, v49
	v_fma_f16 v52, v119, s15, v87
	v_add_f16_e32 v50, v52, v50
	v_sub_f16_e32 v52, v63, v66
	v_add_f16_e32 v122, v33, v58
	v_mul_f16_e32 v95, 0xba0c, v52
	v_fma_f16 v99, v122, s15, -v95
	v_add_f16_e32 v53, v99, v53
	v_mul_f16_e32 v99, 0x3beb, v49
	v_fma_f16 v102, v119, s14, v99
	v_add_f16_e32 v130, v102, v54
	v_mul_f16_e32 v102, 0x3beb, v52
	v_fma_f16 v54, v122, s14, -v102
	v_mul_f16_e32 v107, 0xb853, v49
	v_add_f16_e32 v54, v54, v55
	v_fma_f16 v55, v119, s12, v107
	v_mul_f16_e32 v109, 0xb853, v52
	v_add_f16_e32 v55, v55, v56
	v_fma_f16 v56, v122, s12, -v109
	v_mul_f16_e32 v114, 0xb482, v49
	v_add_f16_e32 v56, v56, v57
	v_fma_f16 v57, v119, s16, v114
	v_mul_f16_e32 v118, 0xb482, v52
	v_mul_f16_e32 v121, 0x3b47, v49
	v_add_f16_e32 v57, v57, v101
	v_fma_f16 v101, v122, s16, -v118
	v_fma_f16 v49, v119, s13, v121
	v_mul_f16_e32 v124, 0x3b47, v52
	v_sub_f16_e32 v131, v34, v25
	v_sub_f16_e32 v132, v64, v65
	v_add_f16_e32 v117, v101, v106
	v_add_f16_e32 v129, v49, v48
	v_fma_f16 v48, v122, s13, -v124
	v_add_f16_e32 v126, v64, v65
	v_mul_f16_e32 v101, 0xb482, v131
	v_add_f16_e32 v127, v34, v25
	v_mul_f16_e32 v106, 0xb482, v132
	v_add_f16_e32 v26, v48, v26
	v_fma_f16 v48, v126, s16, v101
	v_fma_f16 v49, v127, s16, -v106
	v_mul_f16_e32 v112, 0x3853, v132
	v_add_f16_e32 v48, v48, v50
	v_add_f16_e32 v50, v49, v53
	v_fma_f16 v49, v127, s12, -v112
	v_mul_f16_e32 v116, 0xba0c, v131
	v_mul_f16_e32 v120, 0xba0c, v132
	v_mul_f16_e32 v125, 0x3b47, v132
	v_add_f16_e32 v49, v49, v54
	v_fma_f16 v52, v126, s15, v116
	v_fma_f16 v53, v127, s15, -v120
	v_fma_f16 v54, v127, s13, -v125
	v_mul_f16_e32 v128, 0xbbeb, v131
	v_add_f16_e32 v52, v52, v55
	v_add_f16_e32 v55, v53, v56
	v_mul_f16_e32 v123, 0x3b47, v131
	v_add_f16_e32 v56, v54, v117
	v_fma_f16 v54, v126, s14, v128
	v_fma_f16 v53, v126, s13, v123
	v_add_f16_e32 v54, v54, v129
	v_mul_f16_e32 v129, 0xbbeb, v132
	v_add_f16_e32 v53, v53, v57
	v_fma_f16 v57, v127, s14, -v129
	v_mul_f16_e32 v117, 0x3853, v131
	v_add_f16_e32 v57, v57, v26
	v_fma_f16 v26, v126, s12, v117
	v_add_f16_e32 v26, v26, v130
	s_and_saveexec_b64 s[12:13], s[4:5]
	s_cbranch_execz .LBB0_11
; %bb.10:
	v_mul_f16_e32 v130, 0x3abb, v89
	v_mul_f16_e32 v132, 0x36a6, v89
	;; [unrolled: 1-line block ×5, first 2 shown]
	v_sub_f16_e32 v89, v89, v97
	v_sub_f16_e32 v85, v136, v85
	v_sub_f16_e32 v78, v134, v78
	v_sub_f16_e32 v74, v132, v74
	v_sub_f16_e32 v70, v130, v70
	v_add_f16_e32 v89, v29, v89
	v_add_f16_e32 v85, v29, v85
	;; [unrolled: 1-line block ×7, first 2 shown]
	v_mul_f16_e32 v131, 0x3abb, v90
	v_mul_f16_e32 v133, 0x36a6, v90
	;; [unrolled: 1-line block ×10, first 2 shown]
	v_add_f16_e32 v29, v29, v61
	v_add_f16_e32 v30, v30, v31
	v_mul_f16_e32 v139, 0x36a6, v92
	v_mul_f16_e32 v141, 0xb93d, v92
	;; [unrolled: 1-line block ×10, first 2 shown]
	v_add_f16_e32 v90, v104, v90
	v_sub_f16_e32 v91, v91, v98
	v_add_f16_e32 v29, v29, v62
	v_add_f16_e32 v30, v30, v32
	v_mul_f16_e32 v147, 0xb08e, v113
	v_mul_f16_e32 v149, 0xbbad, v113
	;; [unrolled: 1-line block ×10, first 2 shown]
	v_add_f16_e32 v90, v51, v90
	v_add_f16_e32 v92, v105, v92
	;; [unrolled: 1-line block ×3, first 2 shown]
	v_sub_f16_e32 v91, v111, v110
	v_add_f16_e32 v29, v29, v63
	v_add_f16_e32 v30, v30, v33
	v_mul_f16_e32 v155, 0xb93d, v122
	v_mul_f16_e32 v157, 0xb08e, v122
	;; [unrolled: 1-line block ×10, first 2 shown]
	v_add_f16_e32 v90, v92, v90
	v_add_f16_e32 v92, v115, v113
	;; [unrolled: 1-line block ×3, first 2 shown]
	v_sub_f16_e32 v91, v119, v121
	v_add_f16_e32 v72, v72, v131
	v_add_f16_e32 v29, v29, v64
	;; [unrolled: 1-line block ×3, first 2 shown]
	v_mul_f16_e32 v163, 0xbbad, v127
	v_mul_f16_e32 v165, 0x3abb, v127
	;; [unrolled: 1-line block ×5, first 2 shown]
	v_add_f16_e32 v90, v92, v90
	v_add_f16_e32 v92, v124, v122
	;; [unrolled: 1-line block ×3, first 2 shown]
	v_sub_f16_e32 v91, v126, v128
	v_add_f16_e32 v79, v79, v135
	v_add_f16_e32 v76, v76, v133
	v_add_f16_e32 v72, v51, v72
	v_add_f16_e32 v73, v73, v139
	v_sub_f16_e32 v71, v138, v71
	v_add_f16_e32 v29, v29, v65
	v_add_f16_e32 v25, v30, v25
	;; [unrolled: 1-line block ×8, first 2 shown]
	v_sub_f16_e32 v81, v142, v81
	v_add_f16_e32 v76, v51, v76
	v_add_f16_e32 v77, v77, v141
	v_sub_f16_e32 v75, v140, v75
	v_add_f16_e32 v72, v73, v72
	v_add_f16_e32 v73, v82, v147
	v_add_f16_e32 v70, v71, v70
	v_sub_f16_e32 v71, v146, v80
	v_add_f16_e32 v29, v29, v66
	v_add_f16_e32 v25, v25, v58
	v_add_f16_e32 v90, v92, v90
	v_add_f16_e32 v91, v51, v91
	v_add_f16_e32 v92, v94, v145
	v_sub_f16_e32 v86, v144, v86
	v_add_f16_e32 v79, v83, v79
	v_add_f16_e32 v83, v100, v151
	v_add_f16_e32 v78, v81, v78
	v_sub_f16_e32 v81, v150, v96
	v_add_f16_e32 v76, v77, v76
	v_add_f16_e32 v77, v88, v149
	v_add_f16_e32 v74, v75, v74
	v_sub_f16_e32 v75, v148, v84
	v_add_f16_e32 v72, v73, v72
	v_add_f16_e32 v73, v95, v155
	v_add_f16_e32 v70, v71, v70
	v_sub_f16_e32 v71, v154, v87
	v_add_f16_e32 v29, v29, v67
	v_add_f16_e32 v25, v25, v27
	v_add_f16_e32 v91, v92, v91
	v_add_f16_e32 v92, v108, v153
	v_add_f16_e32 v85, v86, v85
	v_sub_f16_e32 v86, v152, v103
	v_add_f16_e32 v79, v83, v79
	v_add_f16_e32 v83, v109, v159
	v_add_f16_e32 v78, v81, v78
	v_sub_f16_e32 v81, v158, v107
	v_add_f16_e32 v76, v77, v76
	;; [unrolled: 18-line block ×3, first 2 shown]
	v_add_f16_e32 v77, v112, v165
	v_add_f16_e32 v74, v75, v74
	v_sub_f16_e32 v75, v164, v117
	v_add_f16_e32 v72, v73, v72
	v_add_f16_e32 v70, v71, v70
	;; [unrolled: 1-line block ×7, first 2 shown]
	v_sub_f16_e32 v86, v168, v123
	v_add_f16_e32 v79, v83, v79
	v_add_f16_e32 v78, v81, v78
	;; [unrolled: 1-line block ×4, first 2 shown]
	v_pack_b32_f16 v25, v29, v25
	v_pack_b32_f16 v27, v70, v72
	v_add_f16_e32 v91, v92, v91
	v_add_f16_e32 v85, v86, v85
	ds_write2_b32 v35, v25, v27 offset1:147
	v_pack_b32_f16 v25, v74, v76
	v_pack_b32_f16 v27, v78, v79
	v_add_u32_e32 v28, 0x400, v35
	ds_write2_b32 v28, v25, v27 offset0:38 offset1:185
	v_pack_b32_f16 v25, v85, v91
	v_pack_b32_f16 v27, v89, v90
	v_add_u32_e32 v28, 0x800, v35
	s_mov_b32 s14, 0x5040100
	ds_write2_b32 v28, v25, v27 offset0:76 offset1:223
	v_perm_b32 v25, v57, v54, s14
	v_perm_b32 v27, v56, v53, s14
	v_add_u32_e32 v28, 0xd00, v35
	ds_write2_b32 v28, v25, v27 offset0:50 offset1:197
	v_perm_b32 v25, v55, v52, s14
	v_perm_b32 v27, v49, v26, s14
	v_add_u32_e32 v28, 0x1200, v35
	ds_write2_b32 v28, v25, v27 offset0:24 offset1:171
	v_perm_b32 v25, v50, v48, s14
	ds_write_b32 v35, v25 offset:5880
.LBB0_11:
	s_or_b64 exec, exec, s[12:13]
	v_mov_b32_e32 v25, s17
	v_addc_co_u32_e64 v25, vcc, 0, v25, s[2:3]
	v_add_co_u32_e32 v27, vcc, 0x1944, v16
	v_addc_co_u32_e32 v28, vcc, 0, v25, vcc
	v_add_co_u32_e32 v29, vcc, 0x1000, v16
	v_addc_co_u32_e32 v30, vcc, 0, v25, vcc
	s_movk_i32 s2, 0x2000
	v_add_co_u32_e32 v31, vcc, s2, v16
	v_addc_co_u32_e32 v32, vcc, 0, v25, vcc
	s_waitcnt lgkmcnt(0)
	s_barrier
	global_load_dword v34, v[31:32], off offset:2588
	global_load_dword v51, v[31:32], off offset:3512
	;; [unrolled: 1-line block ×6, first 2 shown]
	ds_read2_b32 v[29:30], v35 offset1:231
	v_add_u32_e32 v25, 0x840, v35
	v_add_u32_e32 v33, 0x1080, v35
	s_waitcnt lgkmcnt(0)
	v_lshrrev_b32_e32 v31, 16, v29
	v_lshrrev_b32_e32 v32, 16, v30
	s_waitcnt vmcnt(3)
	v_mul_f16_sdwa v62, v31, v58 dst_sel:DWORD dst_unused:UNUSED_PAD src0_sel:DWORD src1_sel:WORD_1
	v_mul_f16_sdwa v63, v29, v58 dst_sel:DWORD dst_unused:UNUSED_PAD src0_sel:DWORD src1_sel:WORD_1
	v_fma_f16 v29, v29, v58, -v62
	v_fma_f16 v31, v31, v58, v63
	v_pack_b32_f16 v29, v29, v31
	s_waitcnt vmcnt(1)
	v_mul_f16_sdwa v64, v32, v60 dst_sel:DWORD dst_unused:UNUSED_PAD src0_sel:DWORD src1_sel:WORD_1
	v_mul_f16_sdwa v65, v30, v60 dst_sel:DWORD dst_unused:UNUSED_PAD src0_sel:DWORD src1_sel:WORD_1
	ds_write_b32 v35, v29
	v_fma_f16 v58, v30, v60, -v64
	ds_read2_b32 v[29:30], v25 offset0:11 offset1:242
	v_fma_f16 v60, v32, v60, v65
	ds_read2_b32 v[31:32], v33 offset0:22 offset1:253
	v_pack_b32_f16 v58, v58, v60
	ds_write_b32 v35, v58 offset:924
	s_waitcnt lgkmcnt(2)
	v_lshrrev_b32_e32 v58, 16, v29
	s_waitcnt vmcnt(0)
	v_mul_f16_sdwa v60, v29, v61 dst_sel:DWORD dst_unused:UNUSED_PAD src0_sel:DWORD src1_sel:WORD_1
	s_waitcnt lgkmcnt(1)
	v_lshrrev_b32_e32 v62, 16, v31
	v_mul_f16_sdwa v63, v31, v34 dst_sel:DWORD dst_unused:UNUSED_PAD src0_sel:DWORD src1_sel:WORD_1
	v_lshrrev_b32_e32 v64, 16, v30
	v_mul_f16_sdwa v65, v30, v59 dst_sel:DWORD dst_unused:UNUSED_PAD src0_sel:DWORD src1_sel:WORD_1
	;; [unrolled: 2-line block ×3, first 2 shown]
	v_fma_f16 v58, v58, v61, v60
	v_mul_f16_sdwa v60, v62, v34 dst_sel:DWORD dst_unused:UNUSED_PAD src0_sel:DWORD src1_sel:WORD_1
	v_fma_f16 v62, v62, v34, v63
	v_mul_f16_sdwa v63, v64, v59 dst_sel:DWORD dst_unused:UNUSED_PAD src0_sel:DWORD src1_sel:WORD_1
	v_mul_f16_sdwa v67, v32, v51 dst_sel:DWORD dst_unused:UNUSED_PAD src0_sel:DWORD src1_sel:WORD_1
	v_fma_f16 v64, v64, v59, v65
	v_mul_f16_sdwa v65, v66, v51 dst_sel:DWORD dst_unused:UNUSED_PAD src0_sel:DWORD src1_sel:WORD_1
	v_fma_f16 v29, v29, v61, -v68
	v_fma_f16 v30, v30, v59, -v63
	v_fma_f16 v66, v66, v51, v67
	v_fma_f16 v31, v31, v34, -v60
	v_fma_f16 v32, v32, v51, -v65
	v_pack_b32_f16 v29, v29, v58
	v_pack_b32_f16 v30, v30, v64
	;; [unrolled: 1-line block ×4, first 2 shown]
	ds_write2_b32 v25, v29, v30 offset0:11 offset1:242
	ds_write2_b32 v33, v31, v32 offset0:22 offset1:253
	s_and_saveexec_b64 s[2:3], s[0:1]
	s_cbranch_execz .LBB0_13
; %bb.12:
	global_load_dword v29, v[27:28], off offset:1848
	global_load_dword v30, v[27:28], off offset:4004
	v_add_co_u32_e32 v27, vcc, 0x1000, v27
	v_addc_co_u32_e32 v28, vcc, 0, v28, vcc
	global_load_dword v27, v[27:28], off offset:2064
	ds_read_b32 v28, v35 offset:1848
	ds_read_b32 v31, v35 offset:4004
	;; [unrolled: 1-line block ×3, first 2 shown]
	s_waitcnt lgkmcnt(2)
	v_lshrrev_b32_e32 v34, 16, v28
	s_waitcnt lgkmcnt(1)
	v_lshrrev_b32_e32 v51, 16, v31
	s_waitcnt lgkmcnt(0)
	v_lshrrev_b32_e32 v58, 16, v32
	s_waitcnt vmcnt(2)
	v_mul_f16_sdwa v59, v34, v29 dst_sel:DWORD dst_unused:UNUSED_PAD src0_sel:DWORD src1_sel:WORD_1
	v_mul_f16_sdwa v60, v28, v29 dst_sel:DWORD dst_unused:UNUSED_PAD src0_sel:DWORD src1_sel:WORD_1
	s_waitcnt vmcnt(1)
	v_mul_f16_sdwa v61, v51, v30 dst_sel:DWORD dst_unused:UNUSED_PAD src0_sel:DWORD src1_sel:WORD_1
	v_mul_f16_sdwa v62, v31, v30 dst_sel:DWORD dst_unused:UNUSED_PAD src0_sel:DWORD src1_sel:WORD_1
	v_fma_f16 v28, v28, v29, -v59
	v_fma_f16 v29, v34, v29, v60
	v_fma_f16 v31, v31, v30, -v61
	v_fma_f16 v30, v51, v30, v62
	v_pack_b32_f16 v28, v28, v29
	v_pack_b32_f16 v29, v31, v30
	s_waitcnt vmcnt(0)
	v_mul_f16_sdwa v30, v58, v27 dst_sel:DWORD dst_unused:UNUSED_PAD src0_sel:DWORD src1_sel:WORD_1
	v_mul_f16_sdwa v31, v32, v27 dst_sel:DWORD dst_unused:UNUSED_PAD src0_sel:DWORD src1_sel:WORD_1
	ds_write_b32 v35, v28 offset:1848
	ds_write_b32 v35, v29 offset:4004
	v_fma_f16 v28, v32, v27, -v30
	v_fma_f16 v27, v58, v27, v31
	v_pack_b32_f16 v27, v28, v27
	ds_write_b32 v35, v27 offset:6160
.LBB0_13:
	s_or_b64 exec, exec, s[2:3]
	s_waitcnt lgkmcnt(0)
	s_barrier
	ds_read2_b32 v[29:30], v35 offset1:231
	ds_read2_b32 v[31:32], v25 offset0:11 offset1:242
	ds_read2_b32 v[33:34], v33 offset0:22 offset1:253
	s_and_saveexec_b64 s[2:3], s[0:1]
	s_cbranch_execz .LBB0_15
; %bb.14:
	ds_read_b32 v54, v35 offset:1848
	ds_read_b32 v53, v35 offset:4004
	;; [unrolled: 1-line block ×3, first 2 shown]
	s_waitcnt lgkmcnt(2)
	v_lshrrev_b32_e32 v57, 16, v54
	s_waitcnt lgkmcnt(1)
	v_lshrrev_b32_e32 v56, 16, v53
	;; [unrolled: 2-line block ×3, first 2 shown]
.LBB0_15:
	s_or_b64 exec, exec, s[2:3]
	v_add_f16_e32 v25, v53, v52
	v_fma_f16 v25, v25, -0.5, v54
	v_sub_f16_e32 v51, v56, v55
	s_mov_b32 s2, 0xbaee
	s_movk_i32 s3, 0x3aee
	v_fma_f16 v28, v51, s2, v25
	v_fma_f16 v25, v51, s3, v25
	v_add_f16_e32 v51, v56, v55
	v_fma_f16 v58, v51, -0.5, v57
	v_sub_f16_e32 v60, v53, v52
	s_waitcnt lgkmcnt(1)
	v_pk_add_f16 v27, v29, v31
	v_fma_f16 v51, v60, s3, v58
	v_fma_f16 v58, v60, s2, v58
	s_waitcnt lgkmcnt(0)
	v_pk_add_f16 v60, v31, v33
	v_pk_add_f16 v31, v31, v33 neg_lo:[0,1] neg_hi:[0,1]
	v_pk_fma_f16 v29, v60, 0.5, v29 op_sel_hi:[1,0,1] neg_lo:[1,0,0] neg_hi:[1,0,0]
	v_pk_mul_f16 v31, v31, s3 op_sel_hi:[1,0]
	v_pk_add_f16 v27, v27, v33
	v_pk_add_f16 v33, v29, v31 op_sel:[0,1] op_sel_hi:[1,0] neg_lo:[0,1] neg_hi:[0,1]
	v_pk_add_f16 v29, v29, v31 op_sel:[0,1] op_sel_hi:[1,0]
	s_mov_b32 s2, 0xffff
	v_bfi_b32 v31, s2, v33, v29
	s_barrier
	ds_write2_b32 v43, v27, v31 offset1:1
	v_bfi_b32 v27, s2, v29, v33
	v_pk_add_f16 v29, v32, v34
	v_pk_add_f16 v59, v30, v32
	v_pk_fma_f16 v29, v29, 0.5, v30 op_sel_hi:[1,0,1] neg_lo:[1,0,0] neg_hi:[1,0,0]
	v_pk_add_f16 v30, v32, v34 neg_lo:[0,1] neg_hi:[0,1]
	v_pk_mul_f16 v30, v30, s3 op_sel_hi:[1,0]
	v_pk_add_f16 v31, v29, v30 op_sel:[0,1] op_sel_hi:[1,0] neg_lo:[0,1] neg_hi:[0,1]
	v_pk_add_f16 v29, v29, v30 op_sel:[0,1] op_sel_hi:[1,0]
	ds_write_b32 v43, v27 offset:8
	v_pk_add_f16 v27, v59, v34
	v_bfi_b32 v30, s2, v31, v29
	ds_write2_b32 v44, v27, v30 offset1:1
	v_bfi_b32 v27, s2, v29, v31
	ds_write_b32 v44, v27 offset:8
	s_and_saveexec_b64 s[2:3], s[0:1]
	s_cbranch_execz .LBB0_17
; %bb.16:
	v_add_f16_e32 v27, v57, v56
	v_add_f16_e32 v29, v54, v53
	;; [unrolled: 1-line block ×4, first 2 shown]
	s_mov_b32 s12, 0x5040100
	v_lshlrev_b32_e32 v30, 2, v45
	v_perm_b32 v31, v51, v28, s12
	v_pack_b32_f16 v27, v29, v27
	ds_write2_b32 v30, v27, v31 offset1:1
	v_perm_b32 v27, v58, v25, s12
	ds_write_b32 v30, v27 offset:8
.LBB0_17:
	s_or_b64 exec, exec, s[2:3]
	s_waitcnt lgkmcnt(0)
	s_barrier
	ds_read2_b32 v[29:30], v35 offset1:231
	v_add_u32_e32 v27, 0x700, v35
	ds_read2_b32 v[31:32], v27 offset0:14 offset1:245
	v_add_u32_e32 v43, 0xe40, v35
	ds_read2_b32 v[33:34], v43 offset0:12 offset1:243
	s_waitcnt lgkmcnt(2)
	v_lshrrev_b32_e32 v44, 16, v30
	v_mul_f16_sdwa v57, v0, v44 dst_sel:DWORD dst_unused:UNUSED_PAD src0_sel:WORD_1 src1_sel:DWORD
	s_waitcnt lgkmcnt(1)
	v_lshrrev_b32_e32 v52, 16, v31
	v_fma_f16 v57, v0, v30, v57
	v_mul_f16_sdwa v30, v0, v30 dst_sel:DWORD dst_unused:UNUSED_PAD src0_sel:WORD_1 src1_sel:DWORD
	v_fma_f16 v0, v0, v44, -v30
	v_mul_f16_sdwa v30, v1, v52 dst_sel:DWORD dst_unused:UNUSED_PAD src0_sel:WORD_1 src1_sel:DWORD
	v_lshrrev_b32_e32 v53, 16, v32
	v_fma_f16 v30, v1, v31, v30
	v_mul_f16_sdwa v31, v1, v31 dst_sel:DWORD dst_unused:UNUSED_PAD src0_sel:WORD_1 src1_sel:DWORD
	ds_read_b32 v45, v35 offset:5544
	v_fma_f16 v1, v1, v52, -v31
	v_mul_f16_sdwa v31, v2, v53 dst_sel:DWORD dst_unused:UNUSED_PAD src0_sel:WORD_1 src1_sel:DWORD
	s_waitcnt lgkmcnt(1)
	v_lshrrev_b32_e32 v54, 16, v33
	v_fma_f16 v31, v2, v32, v31
	v_mul_f16_sdwa v32, v2, v32 dst_sel:DWORD dst_unused:UNUSED_PAD src0_sel:WORD_1 src1_sel:DWORD
	v_fma_f16 v2, v2, v53, -v32
	v_mul_f16_sdwa v32, v3, v54 dst_sel:DWORD dst_unused:UNUSED_PAD src0_sel:WORD_1 src1_sel:DWORD
	v_lshrrev_b32_e32 v55, 16, v34
	v_fma_f16 v32, v3, v33, v32
	v_mul_f16_sdwa v33, v3, v33 dst_sel:DWORD dst_unused:UNUSED_PAD src0_sel:WORD_1 src1_sel:DWORD
	v_fma_f16 v3, v3, v54, -v33
	v_mul_f16_sdwa v33, v19, v55 dst_sel:DWORD dst_unused:UNUSED_PAD src0_sel:WORD_1 src1_sel:DWORD
	s_waitcnt lgkmcnt(0)
	v_lshrrev_b32_e32 v56, 16, v45
	v_fma_f16 v33, v19, v34, v33
	v_mul_f16_sdwa v34, v19, v34 dst_sel:DWORD dst_unused:UNUSED_PAD src0_sel:WORD_1 src1_sel:DWORD
	v_fma_f16 v19, v19, v55, -v34
	v_mul_f16_sdwa v34, v20, v56 dst_sel:DWORD dst_unused:UNUSED_PAD src0_sel:WORD_1 src1_sel:DWORD
	v_mul_f16_sdwa v44, v20, v45 dst_sel:DWORD dst_unused:UNUSED_PAD src0_sel:WORD_1 src1_sel:DWORD
	v_fma_f16 v34, v20, v45, v34
	v_fma_f16 v20, v20, v56, -v44
	v_add_f16_e32 v44, v57, v34
	v_add_f16_e32 v45, v0, v20
	v_sub_f16_e32 v0, v0, v20
	v_add_f16_e32 v20, v30, v33
	v_add_f16_e32 v52, v1, v19
	v_sub_f16_e32 v34, v57, v34
	v_sub_f16_e32 v30, v30, v33
	;; [unrolled: 1-line block ×3, first 2 shown]
	v_add_f16_e32 v19, v31, v32
	v_add_f16_e32 v33, v2, v3
	v_sub_f16_e32 v31, v32, v31
	v_sub_f16_e32 v2, v3, v2
	v_add_f16_e32 v3, v20, v44
	v_add_f16_e32 v32, v52, v45
	v_sub_f16_e32 v53, v20, v44
	v_sub_f16_e32 v54, v52, v45
	;; [unrolled: 1-line block ×6, first 2 shown]
	v_add_f16_e32 v55, v31, v30
	v_add_f16_e32 v56, v2, v1
	v_sub_f16_e32 v57, v31, v30
	v_sub_f16_e32 v59, v2, v1
	;; [unrolled: 1-line block ×4, first 2 shown]
	v_add_f16_e32 v3, v19, v3
	v_add_f16_e32 v19, v33, v32
	v_sub_f16_e32 v31, v34, v31
	v_sub_f16_e32 v2, v0, v2
	v_add_f16_e32 v32, v55, v34
	v_add_f16_e32 v0, v56, v0
	;; [unrolled: 1-line block ×3, first 2 shown]
	v_add_f16_sdwa v29, v29, v19 dst_sel:DWORD dst_unused:UNUSED_PAD src0_sel:WORD_1 src1_sel:DWORD
	v_mul_f16_e32 v34, 0x3a52, v44
	v_mul_f16_e32 v44, 0x3a52, v45
	s_movk_i32 s2, 0x2b26
	v_mul_f16_e32 v45, 0x2b26, v20
	v_mul_f16_e32 v55, 0x2b26, v52
	;; [unrolled: 1-line block ×4, first 2 shown]
	s_mov_b32 s3, 0xbb00
	v_mul_f16_e32 v59, 0xbb00, v30
	v_mul_f16_e32 v60, 0xbb00, v1
	s_mov_b32 s12, 0xbcab
	s_movk_i32 s13, 0x39e0
	s_mov_b32 s14, 0xb9e0
	s_mov_b32 s15, 0xb574
	s_movk_i32 s16, 0x3574
	v_fma_f16 v3, v3, s12, v33
	v_fma_f16 v19, v19, s12, v29
	;; [unrolled: 1-line block ×4, first 2 shown]
	v_fma_f16 v45, v53, s13, -v45
	v_fma_f16 v55, v54, s13, -v55
	;; [unrolled: 1-line block ×4, first 2 shown]
	v_fma_f16 v53, v31, s15, v56
	v_fma_f16 v54, v2, s15, v57
	v_fma_f16 v30, v30, s3, -v56
	v_fma_f16 v1, v1, s3, -v57
	;; [unrolled: 1-line block ×4, first 2 shown]
	s_mov_b32 s17, 0xb70e
	v_add_f16_e32 v20, v20, v3
	v_add_f16_e32 v52, v52, v19
	;; [unrolled: 1-line block ×6, first 2 shown]
	v_fma_f16 v34, v32, s17, v53
	v_fma_f16 v44, v0, s17, v54
	;; [unrolled: 1-line block ×6, first 2 shown]
	v_add_f16_e32 v2, v44, v20
	v_sub_f16_e32 v32, v52, v34
	v_add_f16_e32 v53, v0, v3
	v_sub_f16_e32 v56, v45, v1
	v_add_f16_e32 v57, v30, v55
	v_add_f16_e32 v1, v1, v45
	v_sub_f16_e32 v30, v55, v30
	v_sub_f16_e32 v0, v3, v0
	v_add_f16_e32 v3, v31, v19
	v_sub_f16_e32 v54, v19, v31
	v_sub_f16_e32 v19, v20, v44
	v_add_f16_e32 v20, v34, v52
	v_pack_b32_f16 v29, v33, v29
	v_pack_b32_f16 v2, v2, v32
	;; [unrolled: 1-line block ×4, first 2 shown]
	s_barrier
	ds_write2_b32 v46, v29, v2 offset1:3
	v_pack_b32_f16 v2, v53, v54
	v_pack_b32_f16 v29, v56, v57
	ds_write2_b32 v46, v1, v0 offset0:12 offset1:15
	v_pack_b32_f16 v0, v19, v20
	ds_write2_b32 v46, v2, v29 offset0:6 offset1:9
	ds_write_b32 v46, v0 offset:72
	s_waitcnt lgkmcnt(0)
	s_barrier
	ds_read2_b32 v[1:2], v35 offset1:231
	ds_read2_b32 v[19:20], v27 offset0:14 offset1:245
	ds_read2_b32 v[29:30], v43 offset0:12 offset1:243
	ds_read_b32 v3, v35 offset:5544
	s_waitcnt lgkmcnt(0)
	v_lshrrev_b32_e32 v0, 16, v2
	v_mul_f16_sdwa v43, v4, v0 dst_sel:DWORD dst_unused:UNUSED_PAD src0_sel:WORD_1 src1_sel:DWORD
	v_lshrrev_b32_e32 v27, 16, v19
	v_fma_f16 v43, v4, v2, v43
	v_mul_f16_sdwa v2, v4, v2 dst_sel:DWORD dst_unused:UNUSED_PAD src0_sel:WORD_1 src1_sel:DWORD
	v_lshrrev_b32_e32 v31, 16, v20
	v_fma_f16 v0, v4, v0, -v2
	v_mul_f16_sdwa v2, v5, v27 dst_sel:DWORD dst_unused:UNUSED_PAD src0_sel:WORD_1 src1_sel:DWORD
	v_mul_f16_sdwa v4, v5, v19 dst_sel:DWORD dst_unused:UNUSED_PAD src0_sel:WORD_1 src1_sel:DWORD
	v_lshrrev_b32_e32 v32, 16, v29
	v_fma_f16 v2, v5, v19, v2
	v_fma_f16 v4, v5, v27, -v4
	v_mul_f16_sdwa v5, v6, v31 dst_sel:DWORD dst_unused:UNUSED_PAD src0_sel:WORD_1 src1_sel:DWORD
	v_mul_f16_sdwa v19, v6, v20 dst_sel:DWORD dst_unused:UNUSED_PAD src0_sel:WORD_1 src1_sel:DWORD
	v_lshrrev_b32_e32 v33, 16, v30
	v_fma_f16 v5, v6, v20, v5
	;; [unrolled: 5-line block ×3, first 2 shown]
	v_fma_f16 v7, v7, v32, -v20
	v_mul_f16_sdwa v20, v21, v33 dst_sel:DWORD dst_unused:UNUSED_PAD src0_sel:WORD_1 src1_sel:DWORD
	v_mul_f16_sdwa v27, v21, v30 dst_sel:DWORD dst_unused:UNUSED_PAD src0_sel:WORD_1 src1_sel:DWORD
	v_fma_f16 v20, v21, v30, v20
	v_fma_f16 v21, v21, v33, -v27
	v_mul_f16_sdwa v27, v22, v34 dst_sel:DWORD dst_unused:UNUSED_PAD src0_sel:WORD_1 src1_sel:DWORD
	v_fma_f16 v27, v22, v3, v27
	v_mul_f16_sdwa v3, v22, v3 dst_sel:DWORD dst_unused:UNUSED_PAD src0_sel:WORD_1 src1_sel:DWORD
	v_fma_f16 v3, v22, v34, -v3
	v_add_f16_e32 v22, v43, v27
	v_add_f16_e32 v29, v0, v3
	v_sub_f16_e32 v0, v0, v3
	v_add_f16_e32 v3, v2, v20
	v_add_f16_e32 v30, v4, v21
	v_sub_f16_e32 v2, v2, v20
	v_sub_f16_e32 v4, v4, v21
	v_add_f16_e32 v20, v5, v19
	v_add_f16_e32 v21, v6, v7
	v_sub_f16_e32 v5, v19, v5
	v_sub_f16_e32 v6, v7, v6
	v_add_f16_e32 v7, v3, v22
	v_add_f16_e32 v19, v30, v29
	v_sub_f16_e32 v27, v43, v27
	v_sub_f16_e32 v31, v3, v22
	v_sub_f16_e32 v32, v30, v29
	;; [unrolled: 1-line block ×6, first 2 shown]
	v_add_f16_e32 v33, v5, v2
	v_add_f16_e32 v34, v6, v4
	v_sub_f16_e32 v43, v5, v2
	v_sub_f16_e32 v44, v6, v4
	v_add_f16_e32 v7, v20, v7
	v_add_f16_e32 v19, v21, v19
	v_sub_f16_e32 v5, v27, v5
	v_sub_f16_e32 v45, v0, v6
	;; [unrolled: 1-line block ×4, first 2 shown]
	v_add_f16_e32 v20, v33, v27
	v_add_f16_e32 v21, v34, v0
	v_add_f16_e32 v0, v1, v7
	v_add_f16_sdwa v6, v1, v19 dst_sel:DWORD dst_unused:UNUSED_PAD src0_sel:WORD_1 src1_sel:DWORD
	v_mul_f16_e32 v1, 0x3a52, v22
	v_mul_f16_e32 v22, 0x3a52, v29
	;; [unrolled: 1-line block ×8, first 2 shown]
	v_fma_f16 v7, v7, s12, v0
	v_fma_f16 v19, v19, s12, v6
	;; [unrolled: 1-line block ×4, first 2 shown]
	v_fma_f16 v27, v31, s13, -v27
	v_fma_f16 v29, v32, s13, -v29
	;; [unrolled: 1-line block ×4, first 2 shown]
	v_fma_f16 v31, v5, s15, v33
	v_fma_f16 v32, v45, s15, v34
	v_fma_f16 v2, v2, s3, -v33
	v_fma_f16 v4, v4, s3, -v34
	;; [unrolled: 1-line block ×4, first 2 shown]
	v_add_f16_e32 v34, v3, v7
	v_add_f16_e32 v30, v30, v19
	v_fma_f16 v31, v20, s17, v31
	v_fma_f16 v32, v21, s17, v32
	v_add_f16_e32 v3, v27, v7
	v_add_f16_e32 v27, v29, v19
	;; [unrolled: 1-line block ×4, first 2 shown]
	v_fma_f16 v7, v20, s17, v2
	v_fma_f16 v2, v21, s17, v4
	;; [unrolled: 1-line block ×4, first 2 shown]
	v_add_f16_e32 v1, v32, v34
	v_sub_f16_e32 v29, v30, v31
	v_add_f16_e32 v4, v33, v43
	v_sub_f16_e32 v22, v19, v20
	v_sub_f16_e32 v5, v3, v2
	v_add_f16_e32 v21, v7, v27
	v_add_f16_e32 v19, v20, v19
	;; [unrolled: 1-line block ×3, first 2 shown]
	v_pack_b32_f16 v30, v0, v6
	v_pack_b32_f16 v31, v1, v29
	v_add_f16_e32 v2, v2, v3
	v_sub_f16_e32 v7, v27, v7
	v_sub_f16_e32 v3, v43, v33
	s_barrier
	ds_write2_b32 v47, v30, v31 offset1:21
	v_pack_b32_f16 v30, v4, v22
	v_pack_b32_f16 v31, v5, v21
	v_sub_f16_e32 v27, v34, v32
	ds_write2_b32 v47, v30, v31 offset0:42 offset1:63
	v_pack_b32_f16 v30, v2, v7
	v_pack_b32_f16 v31, v3, v19
	ds_write2_b32 v47, v30, v31 offset0:84 offset1:105
	v_pack_b32_f16 v30, v27, v20
	ds_write_b32 v47, v30 offset:504
	s_waitcnt lgkmcnt(0)
	s_barrier
	s_and_saveexec_b64 s[2:3], s[4:5]
	s_cbranch_execz .LBB0_19
; %bb.18:
	v_add_u32_e32 v2, 0x400, v35
	v_add_u32_e32 v19, 0xd00, v35
	ds_read2_b32 v[4:5], v2 offset0:38 offset1:185
	v_add_u32_e32 v2, 0x800, v35
	ds_read2_b32 v[27:28], v19 offset0:50 offset1:197
	v_add_u32_e32 v19, 0x1200, v35
	ds_read2_b32 v[0:1], v35 offset1:147
	ds_read2_b32 v[2:3], v2 offset0:76 offset1:223
	ds_read2_b32 v[25:26], v19 offset0:24 offset1:171
	ds_read_b32 v48, v35 offset:5880
	s_waitcnt lgkmcnt(5)
	v_lshrrev_b32_e32 v22, 16, v4
	s_waitcnt lgkmcnt(3)
	v_lshrrev_b32_e32 v6, 16, v0
	v_lshrrev_b32_e32 v29, 16, v1
	v_lshrrev_b32_e32 v21, 16, v5
	s_waitcnt lgkmcnt(2)
	v_lshrrev_b32_e32 v7, 16, v2
	v_lshrrev_b32_e32 v19, 16, v3
	;; [unrolled: 1-line block ×4, first 2 shown]
	s_waitcnt lgkmcnt(1)
	v_lshrrev_b32_e32 v58, 16, v25
	v_lshrrev_b32_e32 v49, 16, v26
	s_waitcnt lgkmcnt(0)
	v_lshrrev_b32_e32 v50, 16, v48
.LBB0_19:
	s_or_b64 exec, exec, s[2:3]
	s_and_saveexec_b64 s[2:3], s[4:5]
	s_cbranch_execz .LBB0_21
; %bb.20:
	v_mul_f16_sdwa v31, v8, v1 dst_sel:DWORD dst_unused:UNUSED_PAD src0_sel:WORD_1 src1_sel:DWORD
	v_mul_f16_sdwa v30, v24, v48 dst_sel:DWORD dst_unused:UNUSED_PAD src0_sel:WORD_1 src1_sel:DWORD
	v_fma_f16 v31, v8, v29, -v31
	v_mul_f16_sdwa v29, v8, v29 dst_sel:DWORD dst_unused:UNUSED_PAD src0_sel:WORD_1 src1_sel:DWORD
	v_mul_f16_sdwa v43, v9, v4 dst_sel:DWORD dst_unused:UNUSED_PAD src0_sel:WORD_1 src1_sel:DWORD
	v_fma_f16 v30, v24, v50, -v30
	v_fma_f16 v1, v8, v1, v29
	v_mul_f16_sdwa v8, v24, v50 dst_sel:DWORD dst_unused:UNUSED_PAD src0_sel:WORD_1 src1_sel:DWORD
	v_mul_f16_sdwa v34, v23, v26 dst_sel:DWORD dst_unused:UNUSED_PAD src0_sel:WORD_1 src1_sel:DWORD
	v_fma_f16 v43, v9, v22, -v43
	v_mul_f16_sdwa v22, v9, v22 dst_sel:DWORD dst_unused:UNUSED_PAD src0_sel:WORD_1 src1_sel:DWORD
	v_add_f16_e32 v32, v30, v31
	v_fma_f16 v8, v24, v48, v8
	v_fma_f16 v34, v23, v49, -v34
	v_fma_f16 v4, v9, v4, v22
	v_mul_f16_sdwa v9, v23, v49 dst_sel:DWORD dst_unused:UNUSED_PAD src0_sel:WORD_1 src1_sel:DWORD
	v_mul_f16_e32 v33, 0xbbad, v32
	v_sub_f16_e32 v24, v1, v8
	s_movk_i32 s14, 0x3482
	v_add_f16_e32 v44, v34, v43
	v_fma_f16 v9, v23, v26, v9
	v_fma_f16 v29, v24, s14, v33
	v_mul_f16_e32 v45, 0x3abb, v44
	v_sub_f16_e32 v22, v4, v9
	s_mov_b32 s13, 0xb853
	v_add_f16_e32 v29, v6, v29
	v_fma_f16 v23, v22, s13, v45
	v_add_f16_e32 v23, v23, v29
	v_mul_f16_sdwa v29, v10, v5 dst_sel:DWORD dst_unused:UNUSED_PAD src0_sel:WORD_1 src1_sel:DWORD
	v_mul_f16_sdwa v26, v15, v25 dst_sel:DWORD dst_unused:UNUSED_PAD src0_sel:WORD_1 src1_sel:DWORD
	v_fma_f16 v29, v10, v21, -v29
	v_mul_f16_sdwa v21, v10, v21 dst_sel:DWORD dst_unused:UNUSED_PAD src0_sel:WORD_1 src1_sel:DWORD
	v_fma_f16 v26, v15, v58, -v26
	v_fma_f16 v5, v10, v5, v21
	v_mul_f16_sdwa v10, v15, v58 dst_sel:DWORD dst_unused:UNUSED_PAD src0_sel:WORD_1 src1_sel:DWORD
	v_add_f16_e32 v46, v26, v29
	v_fma_f16 v10, v15, v25, v10
	v_mul_f16_e32 v47, 0xb93d, v46
	v_sub_f16_e32 v15, v5, v10
	s_movk_i32 s23, 0x3a0c
	v_fma_f16 v21, v15, s23, v47
	v_mul_f16_sdwa v25, v11, v2 dst_sel:DWORD dst_unused:UNUSED_PAD src0_sel:WORD_1 src1_sel:DWORD
	v_add_f16_e32 v21, v21, v23
	v_mul_f16_sdwa v23, v14, v28 dst_sel:DWORD dst_unused:UNUSED_PAD src0_sel:WORD_1 src1_sel:DWORD
	v_fma_f16 v25, v11, v7, -v25
	v_mul_f16_sdwa v7, v11, v7 dst_sel:DWORD dst_unused:UNUSED_PAD src0_sel:WORD_1 src1_sel:DWORD
	v_fma_f16 v23, v14, v51, -v23
	v_fma_f16 v2, v11, v2, v7
	v_mul_f16_sdwa v7, v14, v51 dst_sel:DWORD dst_unused:UNUSED_PAD src0_sel:WORD_1 src1_sel:DWORD
	v_add_f16_e32 v48, v23, v25
	v_fma_f16 v7, v14, v28, v7
	v_mul_f16_e32 v49, 0x36a6, v48
	v_sub_f16_e32 v11, v2, v7
	s_mov_b32 s17, 0xbb47
	v_fma_f16 v14, v11, s17, v49
	v_mul_f16_sdwa v28, v12, v3 dst_sel:DWORD dst_unused:UNUSED_PAD src0_sel:WORD_1 src1_sel:DWORD
	v_add_f16_e32 v14, v14, v21
	v_mul_f16_sdwa v21, v13, v27 dst_sel:DWORD dst_unused:UNUSED_PAD src0_sel:WORD_1 src1_sel:DWORD
	v_fma_f16 v28, v12, v19, -v28
	v_mul_f16_sdwa v19, v12, v19 dst_sel:DWORD dst_unused:UNUSED_PAD src0_sel:WORD_1 src1_sel:DWORD
	v_fma_f16 v21, v13, v20, -v21
	v_fma_f16 v3, v12, v3, v19
	v_mul_f16_sdwa v12, v13, v20 dst_sel:DWORD dst_unused:UNUSED_PAD src0_sel:WORD_1 src1_sel:DWORD
	v_add_f16_e32 v50, v21, v28
	v_fma_f16 v12, v13, v27, v12
	v_mul_f16_e32 v51, 0xb08e, v50
	v_sub_f16_e32 v13, v3, v12
	s_movk_i32 s20, 0x3beb
	v_fma_f16 v19, v13, s20, v51
	v_sub_f16_e32 v20, v31, v30
	s_mov_b32 s4, 0xbbad
	v_add_f16_e32 v14, v19, v14
	v_add_f16_e32 v19, v8, v1
	v_mul_f16_e32 v27, 0xb482, v20
	v_sub_f16_e32 v54, v43, v34
	s_movk_i32 s5, 0x3abb
	v_fma_f16 v52, v19, s4, v27
	v_add_f16_e32 v53, v9, v4
	v_mul_f16_e32 v55, 0x3853, v54
	v_add_f16_e32 v52, v0, v52
	v_fma_f16 v56, v53, s5, v55
	v_sub_f16_e32 v57, v29, v26
	s_mov_b32 s12, 0xb93d
	v_add_f16_e32 v52, v56, v52
	v_add_f16_e32 v56, v10, v5
	v_mul_f16_e32 v58, 0xba0c, v57
	v_fma_f16 v59, v56, s12, v58
	v_sub_f16_e32 v60, v25, v23
	s_movk_i32 s15, 0x36a6
	v_add_f16_e32 v52, v59, v52
	v_add_f16_e32 v59, v7, v2
	v_mul_f16_e32 v61, 0x3b47, v60
	v_fma_f16 v62, v59, s15, v61
	v_sub_f16_e32 v63, v28, v21
	s_mov_b32 s16, 0xb08e
	v_add_f16_e32 v52, v62, v52
	v_add_f16_e32 v62, v12, v3
	v_mul_f16_e32 v64, 0xbbeb, v63
	v_fma_f16 v65, v62, s16, v64
	v_add_f16_e32 v52, v65, v52
	v_mul_f16_e32 v65, 0xb93d, v32
	s_mov_b32 s22, 0xbbeb
	v_fma_f16 v66, v24, s23, v65
	v_mul_f16_e32 v67, 0xb08e, v44
	v_add_f16_e32 v66, v6, v66
	v_fma_f16 v68, v22, s22, v67
	s_movk_i32 s21, 0x3853
	v_add_f16_e32 v66, v68, v66
	v_mul_f16_e32 v68, 0x3abb, v46
	v_fma_f16 v69, v15, s21, v68
	v_add_f16_e32 v66, v69, v66
	v_mul_f16_e32 v69, 0xbbad, v48
	v_fma_f16 v70, v11, s14, v69
	;; [unrolled: 3-line block ×4, first 2 shown]
	v_mul_f16_e32 v73, 0x3beb, v54
	v_add_f16_e32 v72, v0, v72
	v_fma_f16 v74, v53, s16, v73
	v_add_f16_e32 v72, v74, v72
	v_mul_f16_e32 v74, 0xb853, v57
	v_add_f16_e32 v1, v0, v1
	v_fma_f16 v75, v56, s5, v74
	v_add_f16_e32 v1, v4, v1
	v_add_f16_e32 v72, v75, v72
	v_mul_f16_e32 v75, 0xb482, v60
	v_add_f16_e32 v1, v5, v1
	s_mov_b32 s18, 0xb482
	v_fma_f16 v76, v59, s4, v75
	v_add_f16_e32 v1, v2, v1
	v_add_f16_e32 v72, v76, v72
	v_mul_f16_e32 v76, 0x3b47, v63
	v_add_f16_e32 v1, v3, v1
	v_fma_f16 v3, v24, s18, v33
	s_mov_b32 s19, 0xba0c
	v_fma_f16 v77, v62, s15, v76
	v_add_f16_e32 v3, v6, v3
	v_fma_f16 v4, v22, s21, v45
	s_movk_i32 s24, 0x3b47
	v_add_f16_e32 v72, v77, v72
	v_mul_f16_e32 v77, 0xb08e, v32
	v_add_f16_e32 v3, v4, v3
	v_fma_f16 v4, v15, s19, v47
	v_fma_f16 v78, v24, s20, v77
	v_mul_f16_e32 v79, 0xbbad, v44
	v_add_f16_e32 v3, v4, v3
	v_fma_f16 v4, v11, s24, v49
	v_add_f16_e32 v78, v6, v78
	v_fma_f16 v80, v22, s18, v79
	;; [unrolled: 2-line block ×3, first 2 shown]
	v_add_f16_e32 v78, v80, v78
	v_mul_f16_e32 v80, 0x36a6, v46
	v_add_f16_e32 v3, v4, v3
	v_fma_f16 v4, v19, s4, -v27
	v_fma_f16 v81, v15, s17, v80
	v_add_f16_e32 v4, v0, v4
	v_fma_f16 v5, v53, s5, -v55
	v_add_f16_e32 v78, v81, v78
	v_mul_f16_e32 v81, 0x3abb, v48
	v_add_f16_e32 v4, v5, v4
	v_fma_f16 v5, v56, s12, -v58
	v_fma_f16 v82, v11, s21, v81
	v_add_f16_e32 v4, v5, v4
	v_fma_f16 v5, v59, s15, -v61
	v_add_f16_e32 v78, v82, v78
	v_mul_f16_e32 v82, 0xb93d, v50
	v_add_f16_e32 v4, v5, v4
	v_fma_f16 v5, v62, s16, -v64
	v_fma_f16 v83, v13, s23, v82
	v_add_f16_e32 v1, v12, v1
	v_add_f16_e32 v4, v5, v4
	v_fma_f16 v5, v24, s19, v65
	v_add_f16_e32 v78, v83, v78
	v_mul_f16_e32 v83, 0xbbeb, v20
	v_add_f16_e32 v1, v7, v1
	v_add_f16_e32 v5, v6, v5
	v_fma_f16 v7, v22, s20, v67
	v_fma_f16 v84, v19, s16, v83
	v_mul_f16_e32 v85, 0x3482, v54
	v_add_f16_e32 v5, v7, v5
	v_fma_f16 v7, v15, s13, v68
	v_add_f16_e32 v84, v0, v84
	v_fma_f16 v86, v53, s4, v85
	;; [unrolled: 2-line block ×3, first 2 shown]
	v_add_f16_e32 v84, v86, v84
	v_mul_f16_e32 v86, 0x3b47, v57
	v_add_f16_e32 v1, v10, v1
	v_add_f16_e32 v5, v7, v5
	v_fma_f16 v7, v13, s24, v70
	v_fma_f16 v87, v56, s15, v86
	v_add_f16_e32 v1, v9, v1
	v_add_f16_e32 v5, v7, v5
	v_fma_f16 v7, v19, s12, -v71
	v_add_f16_e32 v84, v87, v84
	v_mul_f16_e32 v87, 0xb853, v60
	v_add_f16_e32 v1, v8, v1
	v_add_f16_e32 v7, v0, v7
	v_fma_f16 v8, v53, s16, -v73
	v_fma_f16 v88, v59, s5, v87
	v_add_f16_e32 v7, v8, v7
	v_fma_f16 v8, v56, s5, -v74
	v_add_f16_e32 v84, v88, v84
	v_mul_f16_e32 v88, 0xba0c, v63
	v_add_f16_e32 v7, v8, v7
	v_fma_f16 v8, v59, s4, -v75
	v_fma_f16 v89, v62, s12, v88
	v_add_f16_e32 v7, v8, v7
	v_fma_f16 v8, v62, s15, -v76
	v_add_f16_e32 v84, v89, v84
	v_mul_f16_e32 v89, 0x36a6, v32
	v_add_f16_e32 v7, v8, v7
	v_fma_f16 v8, v24, s22, v77
	v_fma_f16 v90, v24, s24, v89
	v_mul_f16_e32 v91, 0xb93d, v44
	v_add_f16_e32 v8, v6, v8
	v_fma_f16 v9, v22, s14, v79
	v_add_f16_e32 v90, v6, v90
	v_fma_f16 v92, v22, s23, v91
	;; [unrolled: 2-line block ×3, first 2 shown]
	v_add_f16_e32 v90, v92, v90
	v_mul_f16_e32 v92, 0xbbad, v46
	v_add_f16_e32 v8, v9, v8
	v_fma_f16 v9, v11, s13, v81
	v_fma_f16 v93, v15, s18, v92
	v_add_f16_e32 v8, v9, v8
	v_fma_f16 v9, v13, s19, v82
	v_add_f16_e32 v90, v93, v90
	v_mul_f16_e32 v93, 0xb08e, v48
	v_add_f16_e32 v8, v9, v8
	v_fma_f16 v9, v19, s16, -v83
	v_fma_f16 v94, v11, s22, v93
	v_add_f16_e32 v9, v0, v9
	v_fma_f16 v10, v53, s4, -v85
	v_add_f16_e32 v90, v94, v90
	v_mul_f16_e32 v94, 0x3abb, v50
	v_add_f16_e32 v9, v10, v9
	v_fma_f16 v10, v56, s15, -v86
	v_fma_f16 v95, v13, s13, v94
	v_add_f16_e32 v9, v10, v9
	v_fma_f16 v10, v59, s5, -v87
	v_add_f16_e32 v90, v95, v90
	v_mul_f16_e32 v95, 0xbb47, v20
	v_add_f16_e32 v9, v10, v9
	v_fma_f16 v10, v62, s12, -v88
	v_fma_f16 v96, v19, s15, v95
	v_mul_f16_e32 v97, 0xba0c, v54
	v_add_f16_e32 v9, v10, v9
	v_fma_f16 v10, v24, s17, v89
	v_add_f16_e32 v96, v0, v96
	v_fma_f16 v98, v53, s12, v97
	v_add_f16_e32 v2, v31, v6
	v_add_f16_e32 v10, v6, v10
	v_fma_f16 v12, v22, s19, v91
	v_add_f16_e32 v96, v98, v96
	v_mul_f16_e32 v98, 0x3482, v57
	v_add_f16_e32 v2, v43, v2
	v_add_f16_e32 v10, v12, v10
	v_fma_f16 v12, v15, s14, v92
	v_fma_f16 v99, v56, s4, v98
	v_add_f16_e32 v2, v29, v2
	v_add_f16_e32 v10, v12, v10
	v_fma_f16 v12, v11, s20, v93
	v_add_f16_e32 v96, v99, v96
	v_mul_f16_e32 v99, 0x3beb, v60
	v_add_f16_e32 v2, v25, v2
	v_add_f16_e32 v10, v12, v10
	v_fma_f16 v12, v13, s21, v94
	v_fma_f16 v100, v59, s16, v99
	v_add_f16_e32 v2, v28, v2
	v_add_f16_e32 v10, v12, v10
	v_fma_f16 v12, v19, s15, -v95
	v_add_f16_e32 v96, v100, v96
	v_mul_f16_e32 v100, 0x3853, v63
	v_add_f16_e32 v2, v21, v2
	v_add_f16_e32 v12, v0, v12
	v_fma_f16 v21, v53, s12, -v97
	v_fma_f16 v101, v62, s5, v100
	v_mul_f16_e32 v32, 0x3abb, v32
	v_add_f16_e32 v12, v21, v12
	v_fma_f16 v21, v56, s4, -v98
	v_add_f16_e32 v96, v101, v96
	v_fma_f16 v101, v24, s21, v32
	v_mul_f16_e32 v44, 0x36a6, v44
	v_add_f16_e32 v12, v21, v12
	v_fma_f16 v21, v59, s16, -v99
	v_add_f16_e32 v101, v6, v101
	;; [unrolled: 5-line block ×3, first 2 shown]
	v_fma_f16 v102, v15, s20, v46
	v_mul_f16_e32 v48, 0xb93d, v48
	v_add_f16_e32 v12, v21, v12
	v_fma_f16 v21, v24, s13, v32
	v_add_f16_e32 v101, v102, v101
	v_fma_f16 v102, v11, s23, v48
	v_mul_f16_e32 v50, 0xbbad, v50
	v_add_f16_e32 v6, v6, v21
	v_fma_f16 v21, v22, s17, v44
	v_add_f16_e32 v101, v102, v101
	;; [unrolled: 5-line block ×5, first 2 shown]
	v_fma_f16 v103, v56, s16, v57
	v_mul_f16_e32 v60, 0xba0c, v60
	v_add_f16_e32 v2, v23, v2
	v_add_f16_e32 v6, v11, v6
	v_fma_f16 v11, v19, s5, -v20
	v_add_f16_e32 v102, v103, v102
	v_fma_f16 v103, v59, s12, v60
	v_mul_f16_e32 v63, 0xb482, v63
	v_add_f16_e32 v2, v26, v2
	v_add_f16_e32 v0, v0, v11
	v_fma_f16 v11, v53, s15, -v54
	v_add_f16_e32 v102, v103, v102
	v_fma_f16 v103, v62, s4, v63
	v_add_f16_e32 v2, v34, v2
	v_add_f16_e32 v0, v11, v0
	v_fma_f16 v11, v56, s16, -v57
	v_add_f16_e32 v102, v103, v102
	v_add_f16_e32 v2, v30, v2
	;; [unrolled: 1-line block ×3, first 2 shown]
	v_fma_f16 v11, v59, s12, -v60
	v_add_f16_e32 v0, v11, v0
	v_fma_f16 v11, v62, s4, -v63
	v_pack_b32_f16 v1, v1, v2
	v_pack_b32_f16 v2, v102, v101
	v_add_f16_e32 v0, v11, v0
	ds_write2_b32 v35, v1, v2 offset1:147
	v_pack_b32_f16 v1, v96, v90
	v_pack_b32_f16 v2, v84, v78
	v_add_u32_e32 v11, 0x400, v35
	ds_write2_b32 v11, v1, v2 offset0:38 offset1:185
	v_pack_b32_f16 v1, v72, v66
	v_pack_b32_f16 v2, v52, v14
	v_add_u32_e32 v11, 0x800, v35
	ds_write2_b32 v11, v1, v2 offset0:76 offset1:223
	;; [unrolled: 4-line block ×3, first 2 shown]
	v_pack_b32_f16 v1, v9, v8
	v_pack_b32_f16 v2, v12, v10
	v_add_u32_e32 v3, 0x1200, v35
	v_pack_b32_f16 v0, v0, v6
	ds_write2_b32 v3, v1, v2 offset0:24 offset1:171
	ds_write_b32 v35, v0 offset:5880
.LBB0_21:
	s_or_b64 exec, exec, s[2:3]
	s_waitcnt lgkmcnt(0)
	s_barrier
	ds_read2_b32 v[0:1], v35 offset1:231
	s_mov_b32 s12, 0x929a339d
	s_mov_b32 s13, 0x3f4443c2
	v_mad_u64_u32 v[4:5], s[2:3], s10, v18, 0
	s_waitcnt lgkmcnt(0)
	v_lshrrev_b32_e32 v7, 16, v0
	v_mul_f16_sdwa v2, v42, v7 dst_sel:DWORD dst_unused:UNUSED_PAD src0_sel:WORD_1 src1_sel:DWORD
	v_fma_f16 v2, v42, v0, v2
	v_cvt_f32_f16_e32 v2, v2
	s_movk_i32 s10, 0x1ff
	v_mad_u64_u32 v[5:6], s[2:3], s11, v18, v[5:6]
	v_cvt_f64_f32_e32 v[2:3], v2
	s_movk_i32 s11, 0xffe
	v_mul_f16_sdwa v0, v42, v0 dst_sel:DWORD dst_unused:UNUSED_PAD src0_sel:WORD_1 src1_sel:DWORD
	v_fma_f16 v0, v42, v7, -v0
	v_mul_f64 v[2:3], v[2:3], s[12:13]
	v_cvt_f32_f16_e32 v0, v0
	s_movk_i32 s14, 0x40f
	s_mov_b32 s15, 0x8000
	s_movk_i32 s16, 0x1000
	v_and_or_b32 v2, v3, s10, v2
	v_cmp_ne_u32_e32 vcc, 0, v2
	v_lshrrev_b32_e32 v6, 8, v3
	v_bfe_u32 v8, v3, 20, 11
	v_cndmask_b32_e64 v2, 0, 1, vcc
	v_and_or_b32 v9, v6, s11, v2
	v_sub_u32_e32 v6, 0x3f1, v8
	v_or_b32_e32 v2, 0x1000, v9
	v_med3_i32 v6, v6, 0, 13
	v_lshrrev_b32_e32 v10, v6, v2
	v_lshlrev_b32_e32 v6, v6, v10
	v_cmp_ne_u32_e32 vcc, v6, v2
	v_cndmask_b32_e64 v2, 0, 1, vcc
	v_add_u32_e32 v8, 0xfffffc10, v8
	v_or_b32_e32 v2, v10, v2
	v_lshl_or_b32 v6, v8, 12, v9
	v_cmp_gt_i32_e32 vcc, 1, v8
	v_cndmask_b32_e32 v2, v6, v2, vcc
	v_and_b32_e32 v6, 7, v2
	v_cmp_lt_i32_e32 vcc, 5, v6
	v_cmp_eq_u32_e64 s[2:3], 3, v6
	v_cvt_f64_f32_e32 v[6:7], v0
	v_lshrrev_b32_e32 v2, 2, v2
	s_or_b64 vcc, s[2:3], vcc
	v_addc_co_u32_e32 v10, vcc, 0, v2, vcc
	v_mul_f64 v[6:7], v[6:7], s[12:13]
	v_mov_b32_e32 v2, 0x7c00
	v_cmp_gt_i32_e32 vcc, 31, v8
	v_cndmask_b32_e32 v0, v2, v10, vcc
	v_cmp_ne_u32_e32 vcc, 0, v9
	v_cndmask_b32_e64 v9, 0, 1, vcc
	v_lshl_or_b32 v9, v9, 9, v2
	v_cmp_eq_u32_e32 vcc, s14, v8
	v_cndmask_b32_e32 v0, v0, v9, vcc
	v_lshrrev_b32_e32 v3, 16, v3
	v_and_or_b32 v3, v3, s15, v0
	v_and_or_b32 v0, v7, s10, v6
	v_cmp_ne_u32_e32 vcc, 0, v0
	v_cndmask_b32_e64 v0, 0, 1, vcc
	v_lshrrev_b32_e32 v6, 8, v7
	v_bfe_u32 v8, v7, 20, 11
	v_and_or_b32 v0, v6, s11, v0
	v_sub_u32_e32 v9, 0x3f1, v8
	v_or_b32_e32 v6, 0x1000, v0
	v_med3_i32 v9, v9, 0, 13
	v_lshrrev_b32_e32 v10, v9, v6
	v_lshlrev_b32_e32 v9, v9, v10
	v_cmp_ne_u32_e32 vcc, v9, v6
	v_cndmask_b32_e64 v6, 0, 1, vcc
	v_add_u32_e32 v8, 0xfffffc10, v8
	v_or_b32_e32 v6, v10, v6
	v_lshl_or_b32 v9, v8, 12, v0
	v_cmp_gt_i32_e32 vcc, 1, v8
	v_cndmask_b32_e32 v6, v9, v6, vcc
	v_and_b32_e32 v9, 7, v6
	v_cmp_lt_i32_e32 vcc, 5, v9
	v_cmp_eq_u32_e64 s[2:3], 3, v9
	v_lshrrev_b32_e32 v6, 2, v6
	s_or_b64 vcc, s[2:3], vcc
	v_addc_co_u32_e32 v6, vcc, 0, v6, vcc
	v_cmp_gt_i32_e32 vcc, 31, v8
	v_cndmask_b32_e32 v6, v2, v6, vcc
	v_cmp_ne_u32_e32 vcc, 0, v0
	v_cndmask_b32_e64 v0, 0, 1, vcc
	v_lshl_or_b32 v0, v0, 9, v2
	v_cmp_eq_u32_e32 vcc, s14, v8
	v_cndmask_b32_e32 v12, v6, v0, vcc
	v_add_u32_e32 v0, 0x840, v35
	v_mad_u64_u32 v[8:9], s[2:3], s8, v40, 0
	ds_read2_b32 v[10:11], v0 offset0:11 offset1:242
	v_lshrrev_b32_e32 v13, 16, v7
	v_mov_b32_e32 v0, v9
	v_mad_u64_u32 v[6:7], s[2:3], s9, v40, v[0:1]
	s_waitcnt lgkmcnt(0)
	v_lshrrev_b32_e32 v0, 16, v10
	v_mul_f16_sdwa v7, v41, v0 dst_sel:DWORD dst_unused:UNUSED_PAD src0_sel:WORD_1 src1_sel:DWORD
	v_fma_f16 v7, v41, v10, v7
	v_cvt_f32_f16_e32 v7, v7
	v_mov_b32_e32 v9, v6
	v_and_or_b32 v12, v13, s15, v12
	v_and_b32_e32 v3, 0xffff, v3
	v_cvt_f64_f32_e32 v[6:7], v7
	v_lshl_or_b32 v12, v12, 16, v3
	v_lshlrev_b64 v[3:4], 2, v[4:5]
	v_mov_b32_e32 v13, s7
	v_mul_f64 v[5:6], v[6:7], s[12:13]
	v_add_co_u32_e32 v7, vcc, s6, v3
	v_addc_co_u32_e32 v13, vcc, v13, v4, vcc
	v_lshlrev_b64 v[3:4], 2, v[8:9]
	v_mul_f16_sdwa v10, v41, v10 dst_sel:DWORD dst_unused:UNUSED_PAD src0_sel:WORD_1 src1_sel:DWORD
	v_add_co_u32_e32 v3, vcc, v7, v3
	v_addc_co_u32_e32 v4, vcc, v13, v4, vcc
	v_and_or_b32 v5, v6, s10, v5
	v_cmp_ne_u32_e32 vcc, 0, v5
	v_cndmask_b32_e64 v5, 0, 1, vcc
	v_lshrrev_b32_e32 v7, 8, v6
	v_bfe_u32 v8, v6, 20, 11
	v_and_or_b32 v5, v7, s11, v5
	v_sub_u32_e32 v9, 0x3f1, v8
	v_or_b32_e32 v7, 0x1000, v5
	v_med3_i32 v9, v9, 0, 13
	global_store_dword v[3:4], v12, off
	v_lshrrev_b32_e32 v12, v9, v7
	v_lshlrev_b32_e32 v9, v9, v12
	v_cmp_ne_u32_e32 vcc, v9, v7
	v_fma_f16 v0, v41, v0, -v10
	v_cndmask_b32_e64 v7, 0, 1, vcc
	v_add_u32_e32 v9, 0xfffffc10, v8
	v_cvt_f32_f16_e32 v0, v0
	v_or_b32_e32 v7, v12, v7
	v_lshl_or_b32 v8, v9, 12, v5
	v_cmp_gt_i32_e32 vcc, 1, v9
	v_cndmask_b32_e32 v7, v8, v7, vcc
	v_and_b32_e32 v8, 7, v7
	v_cmp_lt_i32_e32 vcc, 5, v8
	v_cmp_eq_u32_e64 s[2:3], 3, v8
	v_lshrrev_b32_e32 v10, 2, v7
	v_cvt_f64_f32_e32 v[7:8], v0
	s_or_b64 vcc, s[2:3], vcc
	v_addc_co_u32_e32 v0, vcc, 0, v10, vcc
	v_mul_f64 v[7:8], v[7:8], s[12:13]
	v_cmp_gt_i32_e32 vcc, 31, v9
	v_cndmask_b32_e32 v0, v2, v0, vcc
	v_cmp_ne_u32_e32 vcc, 0, v5
	v_cndmask_b32_e64 v5, 0, 1, vcc
	v_lshl_or_b32 v5, v5, 9, v2
	v_cmp_eq_u32_e32 vcc, s14, v9
	v_cndmask_b32_e32 v0, v0, v5, vcc
	v_lshrrev_b32_e32 v5, 16, v6
	v_and_or_b32 v0, v5, s15, v0
	v_and_or_b32 v5, v8, s10, v7
	v_cmp_ne_u32_e32 vcc, 0, v5
	v_cndmask_b32_e64 v5, 0, 1, vcc
	v_lshrrev_b32_e32 v6, 8, v8
	v_bfe_u32 v7, v8, 20, 11
	v_and_or_b32 v5, v6, s11, v5
	v_sub_u32_e32 v9, 0x3f1, v7
	v_or_b32_e32 v6, 0x1000, v5
	v_med3_i32 v9, v9, 0, 13
	v_lshrrev_b32_e32 v10, v9, v6
	v_lshlrev_b32_e32 v9, v9, v10
	v_cmp_ne_u32_e32 vcc, v9, v6
	v_cndmask_b32_e64 v6, 0, 1, vcc
	v_add_u32_e32 v7, 0xfffffc10, v7
	v_or_b32_e32 v6, v10, v6
	v_lshl_or_b32 v9, v7, 12, v5
	v_cmp_gt_i32_e32 vcc, 1, v7
	v_cndmask_b32_e32 v6, v9, v6, vcc
	v_and_b32_e32 v9, 7, v6
	v_cmp_lt_i32_e32 vcc, 5, v9
	v_cmp_eq_u32_e64 s[2:3], 3, v9
	v_lshrrev_b32_e32 v6, 2, v6
	s_or_b64 vcc, s[2:3], vcc
	v_addc_co_u32_e32 v6, vcc, 0, v6, vcc
	v_cmp_gt_i32_e32 vcc, 31, v7
	v_cndmask_b32_e32 v9, v2, v6, vcc
	v_cmp_ne_u32_e32 vcc, 0, v5
	v_cndmask_b32_e64 v5, 0, 1, vcc
	v_lshl_or_b32 v10, v5, 9, v2
	v_add_u32_e32 v5, 0x1080, v35
	ds_read2_b32 v[5:6], v5 offset0:22 offset1:253
	v_cmp_eq_u32_e32 vcc, s14, v7
	v_cndmask_b32_e32 v7, v9, v10, vcc
	v_lshrrev_b32_e32 v8, 16, v8
	v_and_or_b32 v9, v8, s15, v7
	s_waitcnt lgkmcnt(0)
	v_lshrrev_b32_e32 v10, 16, v5
	v_mul_f16_sdwa v7, v39, v10 dst_sel:DWORD dst_unused:UNUSED_PAD src0_sel:WORD_1 src1_sel:DWORD
	v_fma_f16 v7, v39, v5, v7
	v_cvt_f32_f16_e32 v7, v7
	s_mul_i32 s2, s9, 0x21b
	s_mul_hi_u32 s3, s8, 0x21b
	s_add_i32 s3, s3, s2
	v_cvt_f64_f32_e32 v[7:8], v7
	s_mul_i32 s2, s8, 0x21b
	s_lshl_b64 s[6:7], s[2:3], 2
	v_and_b32_e32 v0, 0xffff, v0
	v_mul_f64 v[7:8], v[7:8], s[12:13]
	v_mov_b32_e32 v12, s7
	v_add_co_u32_e32 v3, vcc, s6, v3
	v_lshl_or_b32 v0, v9, 16, v0
	v_addc_co_u32_e32 v4, vcc, v4, v12, vcc
	global_store_dword v[3:4], v0, off
	v_and_or_b32 v0, v8, s10, v7
	v_cmp_ne_u32_e32 vcc, 0, v0
	v_cndmask_b32_e64 v0, 0, 1, vcc
	v_lshrrev_b32_e32 v7, 8, v8
	v_bfe_u32 v9, v8, 20, 11
	v_and_or_b32 v0, v7, s11, v0
	v_sub_u32_e32 v13, 0x3f1, v9
	v_or_b32_e32 v7, 0x1000, v0
	v_med3_i32 v13, v13, 0, 13
	v_lshrrev_b32_e32 v14, v13, v7
	v_lshlrev_b32_e32 v13, v13, v14
	v_mul_f16_sdwa v5, v39, v5 dst_sel:DWORD dst_unused:UNUSED_PAD src0_sel:WORD_1 src1_sel:DWORD
	v_cmp_ne_u32_e32 vcc, v13, v7
	v_fma_f16 v5, v39, v10, -v5
	v_cndmask_b32_e64 v7, 0, 1, vcc
	v_add_u32_e32 v13, 0xfffffc10, v9
	v_cvt_f32_f16_e32 v5, v5
	v_or_b32_e32 v7, v14, v7
	v_lshl_or_b32 v9, v13, 12, v0
	v_cmp_gt_i32_e32 vcc, 1, v13
	v_cndmask_b32_e32 v7, v9, v7, vcc
	v_and_b32_e32 v9, 7, v7
	v_cmp_lt_i32_e32 vcc, 5, v9
	v_cmp_eq_u32_e64 s[2:3], 3, v9
	v_cvt_f64_f32_e32 v[9:10], v5
	v_lshrrev_b32_e32 v7, 2, v7
	s_or_b64 vcc, s[2:3], vcc
	v_addc_co_u32_e32 v5, vcc, 0, v7, vcc
	v_mul_f64 v[9:10], v[9:10], s[12:13]
	v_cmp_gt_i32_e32 vcc, 31, v13
	v_cndmask_b32_e32 v5, v2, v5, vcc
	v_cmp_ne_u32_e32 vcc, 0, v0
	v_cndmask_b32_e64 v0, 0, 1, vcc
	v_lshl_or_b32 v0, v0, 9, v2
	v_cmp_eq_u32_e32 vcc, s14, v13
	v_cndmask_b32_e32 v0, v5, v0, vcc
	v_lshrrev_b32_e32 v5, 16, v8
	v_and_or_b32 v0, v5, s15, v0
	v_and_or_b32 v5, v10, s10, v9
	v_cmp_ne_u32_e32 vcc, 0, v5
	v_cndmask_b32_e64 v5, 0, 1, vcc
	v_lshrrev_b32_e32 v7, 8, v10
	v_bfe_u32 v8, v10, 20, 11
	v_and_or_b32 v5, v7, s11, v5
	v_sub_u32_e32 v9, 0x3f1, v8
	v_or_b32_e32 v7, 0x1000, v5
	v_med3_i32 v9, v9, 0, 13
	v_lshrrev_b32_e32 v13, v9, v7
	v_lshlrev_b32_e32 v9, v9, v13
	v_cmp_ne_u32_e32 vcc, v9, v7
	v_cndmask_b32_e64 v7, 0, 1, vcc
	v_add_u32_e32 v9, 0xfffffc10, v8
	v_or_b32_e32 v7, v13, v7
	v_lshl_or_b32 v8, v9, 12, v5
	v_cmp_gt_i32_e32 vcc, 1, v9
	v_cndmask_b32_e32 v7, v8, v7, vcc
	v_and_b32_e32 v8, 7, v7
	v_cmp_lt_i32_e32 vcc, 5, v8
	v_cmp_eq_u32_e64 s[2:3], 3, v8
	v_lshrrev_b32_e32 v7, 2, v7
	s_or_b64 vcc, s[2:3], vcc
	v_addc_co_u32_e32 v7, vcc, 0, v7, vcc
	v_cmp_gt_i32_e32 vcc, 31, v9
	v_lshrrev_b32_e32 v14, 16, v1
	v_cndmask_b32_e32 v13, v2, v7, vcc
	v_mul_f16_sdwa v7, v38, v14 dst_sel:DWORD dst_unused:UNUSED_PAD src0_sel:WORD_1 src1_sel:DWORD
	v_fma_f16 v7, v38, v1, v7
	v_cvt_f32_f16_e32 v7, v7
	v_cmp_ne_u32_e32 vcc, 0, v5
	v_cndmask_b32_e64 v5, 0, 1, vcc
	v_lshl_or_b32 v5, v5, 9, v2
	v_cvt_f64_f32_e32 v[7:8], v7
	v_cmp_eq_u32_e32 vcc, s14, v9
	v_cndmask_b32_e32 v5, v13, v5, vcc
	v_lshrrev_b32_e32 v9, 16, v10
	v_mul_f64 v[7:8], v[7:8], s[12:13]
	v_and_or_b32 v5, v9, s15, v5
	v_and_b32_e32 v0, 0xffff, v0
	v_add_co_u32_e32 v3, vcc, s6, v3
	v_lshl_or_b32 v0, v5, 16, v0
	v_addc_co_u32_e32 v4, vcc, v4, v12, vcc
	global_store_dword v[3:4], v0, off
	v_and_or_b32 v0, v8, s10, v7
	v_cmp_ne_u32_e32 vcc, 0, v0
	v_cndmask_b32_e64 v0, 0, 1, vcc
	v_lshrrev_b32_e32 v5, 8, v8
	v_bfe_u32 v7, v8, 20, 11
	v_and_or_b32 v5, v5, s11, v0
	v_sub_u32_e32 v9, 0x3f1, v7
	v_or_b32_e32 v0, 0x1000, v5
	v_med3_i32 v9, v9, 0, 13
	v_lshrrev_b32_e32 v10, v9, v0
	v_lshlrev_b32_e32 v9, v9, v10
	v_mul_f16_sdwa v1, v38, v1 dst_sel:DWORD dst_unused:UNUSED_PAD src0_sel:WORD_1 src1_sel:DWORD
	v_cmp_ne_u32_e32 vcc, v9, v0
	v_fma_f16 v1, v38, v14, -v1
	v_cndmask_b32_e64 v0, 0, 1, vcc
	v_add_u32_e32 v7, 0xfffffc10, v7
	v_cvt_f32_f16_e32 v1, v1
	v_or_b32_e32 v0, v10, v0
	v_lshl_or_b32 v9, v7, 12, v5
	v_cmp_gt_i32_e32 vcc, 1, v7
	v_cndmask_b32_e32 v0, v9, v0, vcc
	v_and_b32_e32 v9, 7, v0
	v_cmp_lt_i32_e32 vcc, 5, v9
	v_cmp_eq_u32_e64 s[2:3], 3, v9
	v_lshrrev_b32_e32 v9, 2, v0
	v_cvt_f64_f32_e32 v[0:1], v1
	s_or_b64 vcc, s[2:3], vcc
	v_addc_co_u32_e32 v9, vcc, 0, v9, vcc
	v_mul_f64 v[0:1], v[0:1], s[12:13]
	v_cmp_gt_i32_e32 vcc, 31, v7
	v_cndmask_b32_e32 v9, v2, v9, vcc
	v_cmp_ne_u32_e32 vcc, 0, v5
	v_cndmask_b32_e64 v5, 0, 1, vcc
	v_lshl_or_b32 v5, v5, 9, v2
	v_cmp_eq_u32_e32 vcc, s14, v7
	v_cndmask_b32_e32 v5, v9, v5, vcc
	v_and_or_b32 v0, v1, s10, v0
	v_lshrrev_b32_e32 v7, 16, v8
	v_cmp_ne_u32_e32 vcc, 0, v0
	v_and_or_b32 v5, v7, s15, v5
	v_cndmask_b32_e64 v0, 0, 1, vcc
	v_lshrrev_b32_e32 v7, 8, v1
	v_bfe_u32 v8, v1, 20, 11
	v_and_or_b32 v0, v7, s11, v0
	v_sub_u32_e32 v9, 0x3f1, v8
	v_or_b32_e32 v7, 0x1000, v0
	v_med3_i32 v9, v9, 0, 13
	v_lshrrev_b32_e32 v10, v9, v7
	v_lshlrev_b32_e32 v9, v9, v10
	v_cmp_ne_u32_e32 vcc, v9, v7
	v_cndmask_b32_e64 v7, 0, 1, vcc
	v_add_u32_e32 v8, 0xfffffc10, v8
	v_or_b32_e32 v7, v10, v7
	v_lshl_or_b32 v9, v8, 12, v0
	v_cmp_gt_i32_e32 vcc, 1, v8
	v_cndmask_b32_e32 v7, v9, v7, vcc
	v_and_b32_e32 v9, 7, v7
	v_cmp_lt_i32_e32 vcc, 5, v9
	v_cmp_eq_u32_e64 s[2:3], 3, v9
	v_lshrrev_b32_e32 v7, 2, v7
	s_or_b64 vcc, s[2:3], vcc
	v_addc_co_u32_e32 v7, vcc, 0, v7, vcc
	v_cmp_gt_i32_e32 vcc, 31, v8
	v_cndmask_b32_e32 v7, v2, v7, vcc
	v_cmp_ne_u32_e32 vcc, 0, v0
	v_cndmask_b32_e64 v0, 0, 1, vcc
	v_lshl_or_b32 v0, v0, 9, v2
	v_cmp_eq_u32_e32 vcc, s14, v8
	v_cndmask_b32_e32 v0, v7, v0, vcc
	v_lshrrev_b32_e32 v1, 16, v1
	v_lshrrev_b32_e32 v8, 16, v11
	v_and_or_b32 v7, v1, s15, v0
	v_mul_f16_sdwa v0, v37, v8 dst_sel:DWORD dst_unused:UNUSED_PAD src0_sel:WORD_1 src1_sel:DWORD
	v_fma_f16 v0, v37, v11, v0
	v_cvt_f32_f16_e32 v0, v0
	s_mul_hi_u32 s3, s8, 0xfffffcb1
	s_mul_i32 s2, s9, 0xfffffcb1
	s_sub_i32 s3, s3, s8
	v_cvt_f64_f32_e32 v[0:1], v0
	s_add_i32 s3, s3, s2
	s_mul_i32 s2, s8, 0xfffffcb1
	v_and_b32_e32 v5, 0xffff, v5
	v_mul_f64 v[0:1], v[0:1], s[12:13]
	s_lshl_b64 s[4:5], s[2:3], 2
	v_lshl_or_b32 v5, v7, 16, v5
	v_mov_b32_e32 v7, s5
	v_add_co_u32_e32 v3, vcc, s4, v3
	v_addc_co_u32_e32 v4, vcc, v4, v7, vcc
	v_and_or_b32 v0, v1, s10, v0
	v_cmp_ne_u32_e32 vcc, 0, v0
	global_store_dword v[3:4], v5, off
	v_cndmask_b32_e64 v0, 0, 1, vcc
	v_lshrrev_b32_e32 v5, 8, v1
	v_bfe_u32 v7, v1, 20, 11
	v_and_or_b32 v0, v5, s11, v0
	v_sub_u32_e32 v9, 0x3f1, v7
	v_or_b32_e32 v5, 0x1000, v0
	v_med3_i32 v9, v9, 0, 13
	v_lshrrev_b32_e32 v10, v9, v5
	v_lshlrev_b32_e32 v9, v9, v10
	v_cmp_ne_u32_e32 vcc, v9, v5
	v_cndmask_b32_e64 v5, 0, 1, vcc
	v_or_b32_e32 v5, v10, v5
	v_mul_f16_sdwa v10, v37, v11 dst_sel:DWORD dst_unused:UNUSED_PAD src0_sel:WORD_1 src1_sel:DWORD
	v_fma_f16 v8, v37, v8, -v10
	v_add_u32_e32 v9, 0xfffffc10, v7
	v_cvt_f32_f16_e32 v8, v8
	v_lshl_or_b32 v7, v9, 12, v0
	v_cmp_gt_i32_e32 vcc, 1, v9
	v_cndmask_b32_e32 v5, v7, v5, vcc
	v_and_b32_e32 v7, 7, v5
	v_cmp_lt_i32_e32 vcc, 5, v7
	v_cmp_eq_u32_e64 s[2:3], 3, v7
	v_cvt_f64_f32_e32 v[7:8], v8
	v_lshrrev_b32_e32 v5, 2, v5
	s_or_b64 vcc, s[2:3], vcc
	v_addc_co_u32_e32 v5, vcc, 0, v5, vcc
	v_mul_f64 v[7:8], v[7:8], s[12:13]
	v_cmp_gt_i32_e32 vcc, 31, v9
	v_cndmask_b32_e32 v5, v2, v5, vcc
	v_cmp_ne_u32_e32 vcc, 0, v0
	v_cndmask_b32_e64 v0, 0, 1, vcc
	v_lshl_or_b32 v0, v0, 9, v2
	v_cmp_eq_u32_e32 vcc, s14, v9
	v_cndmask_b32_e32 v0, v5, v0, vcc
	v_lshrrev_b32_e32 v1, 16, v1
	v_and_or_b32 v5, v1, s15, v0
	v_and_or_b32 v0, v8, s10, v7
	v_cmp_ne_u32_e32 vcc, 0, v0
	v_cndmask_b32_e64 v0, 0, 1, vcc
	v_lshrrev_b32_e32 v1, 8, v8
	v_bfe_u32 v7, v8, 20, 11
	v_and_or_b32 v0, v1, s11, v0
	v_sub_u32_e32 v9, 0x3f1, v7
	v_or_b32_e32 v1, 0x1000, v0
	v_med3_i32 v9, v9, 0, 13
	v_lshrrev_b32_e32 v10, v9, v1
	v_lshlrev_b32_e32 v9, v9, v10
	v_cmp_ne_u32_e32 vcc, v9, v1
	v_cndmask_b32_e64 v1, 0, 1, vcc
	v_add_u32_e32 v7, 0xfffffc10, v7
	v_or_b32_e32 v1, v10, v1
	v_lshl_or_b32 v9, v7, 12, v0
	v_cmp_gt_i32_e32 vcc, 1, v7
	v_cndmask_b32_e32 v1, v9, v1, vcc
	v_and_b32_e32 v9, 7, v1
	v_cmp_lt_i32_e32 vcc, 5, v9
	v_cmp_eq_u32_e64 s[2:3], 3, v9
	v_lshrrev_b32_e32 v1, 2, v1
	s_or_b64 vcc, s[2:3], vcc
	v_addc_co_u32_e32 v1, vcc, 0, v1, vcc
	v_cmp_gt_i32_e32 vcc, 31, v7
	v_lshrrev_b32_e32 v10, 16, v6
	v_cndmask_b32_e32 v9, v2, v1, vcc
	v_mul_f16_sdwa v1, v36, v10 dst_sel:DWORD dst_unused:UNUSED_PAD src0_sel:WORD_1 src1_sel:DWORD
	v_fma_f16 v1, v36, v6, v1
	v_cvt_f32_f16_e32 v1, v1
	v_cmp_ne_u32_e32 vcc, 0, v0
	v_cndmask_b32_e64 v0, 0, 1, vcc
	v_lshl_or_b32 v11, v0, 9, v2
	v_cvt_f64_f32_e32 v[0:1], v1
	v_cmp_eq_u32_e32 vcc, s14, v7
	v_cndmask_b32_e32 v7, v9, v11, vcc
	v_lshrrev_b32_e32 v8, 16, v8
	v_mul_f64 v[0:1], v[0:1], s[12:13]
	v_add_co_u32_e32 v3, vcc, s6, v3
	v_and_or_b32 v7, v8, s15, v7
	v_and_b32_e32 v5, 0xffff, v5
	v_addc_co_u32_e32 v4, vcc, v4, v12, vcc
	v_lshl_or_b32 v5, v7, 16, v5
	v_and_or_b32 v0, v1, s10, v0
	v_cmp_ne_u32_e32 vcc, 0, v0
	global_store_dword v[3:4], v5, off
	v_cndmask_b32_e64 v0, 0, 1, vcc
	v_lshrrev_b32_e32 v5, 8, v1
	v_bfe_u32 v7, v1, 20, 11
	v_and_or_b32 v0, v5, s11, v0
	v_sub_u32_e32 v8, 0x3f1, v7
	v_or_b32_e32 v5, 0x1000, v0
	v_med3_i32 v8, v8, 0, 13
	v_lshrrev_b32_e32 v9, v8, v5
	v_lshlrev_b32_e32 v8, v8, v9
	v_mul_f16_sdwa v6, v36, v6 dst_sel:DWORD dst_unused:UNUSED_PAD src0_sel:WORD_1 src1_sel:DWORD
	v_cmp_ne_u32_e32 vcc, v8, v5
	v_fma_f16 v6, v36, v10, -v6
	v_cndmask_b32_e64 v5, 0, 1, vcc
	v_add_u32_e32 v7, 0xfffffc10, v7
	v_cvt_f32_f16_e32 v6, v6
	v_or_b32_e32 v5, v9, v5
	v_lshl_or_b32 v8, v7, 12, v0
	v_cmp_gt_i32_e32 vcc, 1, v7
	v_cndmask_b32_e32 v5, v8, v5, vcc
	v_and_b32_e32 v8, 7, v5
	v_cmp_lt_i32_e32 vcc, 5, v8
	v_cmp_eq_u32_e64 s[2:3], 3, v8
	v_lshrrev_b32_e32 v8, 2, v5
	v_cvt_f64_f32_e32 v[5:6], v6
	s_or_b64 vcc, s[2:3], vcc
	v_addc_co_u32_e32 v8, vcc, 0, v8, vcc
	v_mul_f64 v[5:6], v[5:6], s[12:13]
	v_cmp_gt_i32_e32 vcc, 31, v7
	v_cndmask_b32_e32 v8, v2, v8, vcc
	v_cmp_ne_u32_e32 vcc, 0, v0
	v_cndmask_b32_e64 v0, 0, 1, vcc
	v_lshl_or_b32 v0, v0, 9, v2
	v_cmp_eq_u32_e32 vcc, s14, v7
	v_cndmask_b32_e32 v0, v8, v0, vcc
	v_lshrrev_b32_e32 v1, 16, v1
	v_and_or_b32 v0, v1, s15, v0
	v_and_or_b32 v1, v6, s10, v5
	v_cmp_ne_u32_e32 vcc, 0, v1
	v_cndmask_b32_e64 v1, 0, 1, vcc
	v_lshrrev_b32_e32 v5, 8, v6
	v_bfe_u32 v7, v6, 20, 11
	v_and_or_b32 v1, v5, s11, v1
	v_sub_u32_e32 v8, 0x3f1, v7
	v_or_b32_e32 v5, 0x1000, v1
	v_med3_i32 v8, v8, 0, 13
	v_lshrrev_b32_e32 v9, v8, v5
	v_lshlrev_b32_e32 v8, v8, v9
	v_cmp_ne_u32_e32 vcc, v8, v5
	v_cndmask_b32_e64 v5, 0, 1, vcc
	v_add_u32_e32 v7, 0xfffffc10, v7
	v_or_b32_e32 v5, v9, v5
	v_lshl_or_b32 v8, v7, 12, v1
	v_cmp_gt_i32_e32 vcc, 1, v7
	v_cndmask_b32_e32 v5, v8, v5, vcc
	v_and_b32_e32 v8, 7, v5
	v_cmp_lt_i32_e32 vcc, 5, v8
	v_cmp_eq_u32_e64 s[2:3], 3, v8
	v_lshrrev_b32_e32 v5, 2, v5
	s_or_b64 vcc, s[2:3], vcc
	v_addc_co_u32_e32 v5, vcc, 0, v5, vcc
	v_cmp_gt_i32_e32 vcc, 31, v7
	v_cndmask_b32_e32 v5, v2, v5, vcc
	v_cmp_ne_u32_e32 vcc, 0, v1
	v_cndmask_b32_e64 v1, 0, 1, vcc
	v_lshl_or_b32 v1, v1, 9, v2
	v_cmp_eq_u32_e32 vcc, s14, v7
	v_cndmask_b32_e32 v1, v5, v1, vcc
	v_lshrrev_b32_e32 v5, 16, v6
	v_and_or_b32 v1, v5, s15, v1
	v_and_b32_e32 v0, 0xffff, v0
	v_lshl_or_b32 v5, v1, 16, v0
	v_add_co_u32_e32 v0, vcc, s6, v3
	v_addc_co_u32_e32 v1, vcc, v4, v12, vcc
	global_store_dword v[0:1], v5, off
	s_and_b64 exec, exec, s[0:1]
	s_cbranch_execz .LBB0_23
; %bb.22:
	global_load_dword v3, v[16:17], off offset:1848
	global_load_dword v11, v[16:17], off offset:4004
	ds_read_b32 v4, v35 offset:1848
	ds_read_b32 v12, v35 offset:4004
	v_mov_b32_e32 v13, s5
	ds_read_b32 v14, v35 offset:6160
	s_waitcnt lgkmcnt(2)
	v_lshrrev_b32_e32 v5, 16, v4
	s_waitcnt lgkmcnt(1)
	v_lshrrev_b32_e32 v15, 16, v12
	s_waitcnt vmcnt(1)
	v_mul_f16_sdwa v6, v5, v3 dst_sel:DWORD dst_unused:UNUSED_PAD src0_sel:DWORD src1_sel:WORD_1
	v_mul_f16_sdwa v7, v4, v3 dst_sel:DWORD dst_unused:UNUSED_PAD src0_sel:DWORD src1_sel:WORD_1
	s_waitcnt vmcnt(0)
	v_mul_f16_sdwa v8, v15, v11 dst_sel:DWORD dst_unused:UNUSED_PAD src0_sel:DWORD src1_sel:WORD_1
	v_fma_f16 v4, v4, v3, v6
	v_fma_f16 v3, v3, v5, -v7
	v_add_co_u32_e32 v7, vcc, s16, v16
	v_cvt_f32_f16_e32 v5, v3
	v_fma_f16 v3, v12, v11, v8
	v_addc_co_u32_e32 v8, vcc, 0, v17, vcc
	v_add_co_u32_e32 v0, vcc, s4, v0
	v_addc_co_u32_e32 v1, vcc, v1, v13, vcc
	global_load_dword v13, v[7:8], off offset:2064
	v_cvt_f32_f16_e32 v4, v4
	v_cvt_f32_f16_e32 v9, v3
	v_cvt_f64_f32_e32 v[5:6], v5
	v_cvt_f64_f32_e32 v[3:4], v4
	;; [unrolled: 1-line block ×3, first 2 shown]
	v_mul_f64 v[5:6], v[5:6], s[12:13]
	v_mul_f64 v[3:4], v[3:4], s[12:13]
	;; [unrolled: 1-line block ×3, first 2 shown]
	v_and_or_b32 v5, v6, s10, v5
	v_lshrrev_b32_e32 v16, 8, v6
	v_and_or_b32 v3, v4, s10, v3
	v_cmp_ne_u32_e32 vcc, 0, v3
	v_lshrrev_b32_e32 v9, 8, v4
	v_bfe_u32 v10, v4, 20, 11
	v_and_or_b32 v7, v8, s10, v7
	v_cndmask_b32_e64 v3, 0, 1, vcc
	v_cmp_ne_u32_e32 vcc, 0, v5
	v_bfe_u32 v17, v6, 20, 11
	v_bfe_u32 v19, v8, 20, 11
	v_sub_u32_e32 v20, 0x3f1, v10
	v_cndmask_b32_e64 v5, 0, 1, vcc
	v_cmp_ne_u32_e32 vcc, 0, v7
	v_and_or_b32 v3, v9, s11, v3
	v_lshrrev_b32_e32 v18, 8, v8
	v_sub_u32_e32 v21, 0x3f1, v17
	v_cndmask_b32_e64 v7, 0, 1, vcc
	v_sub_u32_e32 v22, 0x3f1, v19
	v_med3_i32 v9, v20, 0, 13
	v_and_or_b32 v5, v16, s11, v5
	v_or_b32_e32 v20, 0x1000, v3
	v_add_u32_e32 v10, 0xfffffc10, v10
	v_med3_i32 v16, v21, 0, 13
	v_and_or_b32 v7, v18, s11, v7
	v_med3_i32 v18, v22, 0, 13
	v_cmp_ne_u32_e32 vcc, 0, v3
	v_or_b32_e32 v22, 0x1000, v5
	v_lshrrev_b32_e32 v25, v9, v20
	v_add_u32_e32 v17, 0xfffffc10, v17
	v_lshl_or_b32 v21, v10, 12, v3
	v_cndmask_b32_e64 v3, 0, 1, vcc
	v_cmp_ne_u32_e32 vcc, 0, v5
	v_or_b32_e32 v24, 0x1000, v7
	v_lshrrev_b32_e32 v26, v16, v22
	v_lshlrev_b32_e32 v9, v9, v25
	v_lshl_or_b32 v23, v17, 12, v5
	v_cndmask_b32_e64 v5, 0, 1, vcc
	v_lshrrev_b32_e32 v27, v18, v24
	v_lshlrev_b32_e32 v16, v16, v26
	v_cmp_ne_u32_e32 vcc, v9, v20
	v_lshlrev_b32_e32 v18, v18, v27
	v_cndmask_b32_e64 v9, 0, 1, vcc
	v_cmp_ne_u32_e32 vcc, v16, v22
	v_cndmask_b32_e64 v16, 0, 1, vcc
	v_cmp_ne_u32_e32 vcc, v18, v24
	v_cndmask_b32_e64 v18, 0, 1, vcc
	v_or_b32_e32 v9, v25, v9
	v_cmp_gt_i32_e32 vcc, 1, v10
	v_cndmask_b32_e32 v9, v21, v9, vcc
	v_or_b32_e32 v16, v26, v16
	v_cmp_gt_i32_e32 vcc, 1, v17
	v_and_b32_e32 v20, 7, v9
	v_cndmask_b32_e32 v16, v23, v16, vcc
	v_cmp_lt_i32_e32 vcc, 5, v20
	v_cmp_eq_u32_e64 s[0:1], 3, v20
	v_lshrrev_b32_e32 v9, 2, v9
	v_and_b32_e32 v21, 7, v16
	s_or_b64 vcc, s[0:1], vcc
	v_cmp_lt_i32_e64 s[2:3], 5, v21
	v_cmp_eq_u32_e64 s[4:5], 3, v21
	v_addc_co_u32_e32 v9, vcc, 0, v9, vcc
	v_lshrrev_b32_e32 v16, 2, v16
	s_or_b64 vcc, s[4:5], s[2:3]
	v_addc_co_u32_e32 v16, vcc, 0, v16, vcc
	v_cmp_gt_i32_e32 vcc, 31, v10
	v_cndmask_b32_e32 v9, v2, v9, vcc
	v_cmp_gt_i32_e32 vcc, 31, v17
	v_lshl_or_b32 v3, v3, 9, v2
	v_cndmask_b32_e32 v16, v2, v16, vcc
	v_cmp_eq_u32_e32 vcc, s14, v10
	v_lshl_or_b32 v5, v5, 9, v2
	v_cndmask_b32_e32 v3, v9, v3, vcc
	v_cmp_eq_u32_e32 vcc, s14, v17
	v_lshrrev_b32_e32 v4, 16, v4
	v_lshrrev_b32_e32 v6, 16, v6
	v_cndmask_b32_e32 v5, v16, v5, vcc
	v_and_or_b32 v3, v4, s15, v3
	v_and_or_b32 v4, v6, s15, v5
	v_mul_f16_sdwa v6, v12, v11 dst_sel:DWORD dst_unused:UNUSED_PAD src0_sel:DWORD src1_sel:WORD_1
	v_and_b32_e32 v3, 0xffff, v3
	v_fma_f16 v6, v11, v15, -v6
	v_lshl_or_b32 v3, v4, 16, v3
	v_add_u32_e32 v5, 0xfffffc10, v19
	v_cvt_f32_f16_e32 v6, v6
	global_store_dword v[0:1], v3, off
	v_or_b32_e32 v3, v27, v18
	v_lshl_or_b32 v4, v5, 12, v7
	v_cmp_gt_i32_e32 vcc, 1, v5
	v_cndmask_b32_e32 v3, v4, v3, vcc
	v_and_b32_e32 v4, 7, v3
	v_cmp_lt_i32_e32 vcc, 5, v4
	v_cmp_eq_u32_e64 s[0:1], 3, v4
	v_lshrrev_b32_e32 v9, 2, v3
	v_cvt_f64_f32_e32 v[3:4], v6
	s_or_b64 vcc, s[0:1], vcc
	v_addc_co_u32_e32 v6, vcc, 0, v9, vcc
	v_mul_f64 v[3:4], v[3:4], s[12:13]
	v_cmp_gt_i32_e32 vcc, 31, v5
	v_cndmask_b32_e32 v6, v2, v6, vcc
	v_cmp_ne_u32_e32 vcc, 0, v7
	v_cndmask_b32_e64 v7, 0, 1, vcc
	v_lshl_or_b32 v7, v7, 9, v2
	v_cmp_eq_u32_e32 vcc, s14, v5
	v_cndmask_b32_e32 v5, v6, v7, vcc
	v_and_or_b32 v3, v4, s10, v3
	v_lshrrev_b32_e32 v6, 16, v8
	v_cmp_ne_u32_e32 vcc, 0, v3
	v_and_or_b32 v7, v6, s15, v5
	v_cndmask_b32_e64 v3, 0, 1, vcc
	v_lshrrev_b32_e32 v5, 8, v4
	v_bfe_u32 v6, v4, 20, 11
	v_and_or_b32 v3, v5, s11, v3
	v_sub_u32_e32 v8, 0x3f1, v6
	v_or_b32_e32 v5, 0x1000, v3
	v_med3_i32 v8, v8, 0, 13
	v_lshrrev_b32_e32 v9, v8, v5
	v_lshlrev_b32_e32 v8, v8, v9
	v_cmp_ne_u32_e32 vcc, v8, v5
	v_cndmask_b32_e64 v5, 0, 1, vcc
	v_add_u32_e32 v6, 0xfffffc10, v6
	v_or_b32_e32 v5, v9, v5
	v_lshl_or_b32 v8, v6, 12, v3
	v_cmp_gt_i32_e32 vcc, 1, v6
	v_cndmask_b32_e32 v5, v8, v5, vcc
	v_and_b32_e32 v8, 7, v5
	v_cmp_lt_i32_e32 vcc, 5, v8
	v_cmp_eq_u32_e64 s[0:1], 3, v8
	s_waitcnt lgkmcnt(0)
	v_lshrrev_b32_e32 v8, 16, v14
	v_lshrrev_b32_e32 v5, 2, v5
	s_or_b64 vcc, s[0:1], vcc
	s_waitcnt vmcnt(1)
	v_mul_f16_sdwa v9, v8, v13 dst_sel:DWORD dst_unused:UNUSED_PAD src0_sel:DWORD src1_sel:WORD_1
	v_addc_co_u32_e32 v5, vcc, 0, v5, vcc
	v_fma_f16 v9, v14, v13, v9
	v_cmp_gt_i32_e32 vcc, 31, v6
	v_cvt_f32_f16_e32 v9, v9
	v_cndmask_b32_e32 v5, v2, v5, vcc
	v_cmp_ne_u32_e32 vcc, 0, v3
	v_cndmask_b32_e64 v3, 0, 1, vcc
	v_lshl_or_b32 v3, v3, 9, v2
	v_cmp_eq_u32_e32 vcc, s14, v6
	v_cndmask_b32_e32 v3, v5, v3, vcc
	v_cvt_f64_f32_e32 v[5:6], v9
	v_lshrrev_b32_e32 v4, 16, v4
	v_and_or_b32 v9, v4, s15, v3
	v_and_b32_e32 v7, 0xffff, v7
	v_mul_f64 v[3:4], v[5:6], s[12:13]
	v_lshl_or_b32 v5, v9, 16, v7
	v_mov_b32_e32 v7, s7
	v_add_co_u32_e32 v0, vcc, s6, v0
	v_addc_co_u32_e32 v1, vcc, v1, v7, vcc
	global_store_dword v[0:1], v5, off
	v_and_or_b32 v3, v4, s10, v3
	v_cmp_ne_u32_e32 vcc, 0, v3
	v_cndmask_b32_e64 v3, 0, 1, vcc
	v_lshrrev_b32_e32 v5, 8, v4
	v_bfe_u32 v6, v4, 20, 11
	v_and_or_b32 v3, v5, s11, v3
	v_sub_u32_e32 v9, 0x3f1, v6
	v_or_b32_e32 v5, 0x1000, v3
	v_med3_i32 v9, v9, 0, 13
	v_lshrrev_b32_e32 v10, v9, v5
	v_lshlrev_b32_e32 v9, v9, v10
	v_cmp_ne_u32_e32 vcc, v9, v5
	v_cndmask_b32_e64 v5, 0, 1, vcc
	v_or_b32_e32 v5, v10, v5
	v_mul_f16_sdwa v10, v14, v13 dst_sel:DWORD dst_unused:UNUSED_PAD src0_sel:DWORD src1_sel:WORD_1
	v_fma_f16 v8, v13, v8, -v10
	v_add_u32_e32 v9, 0xfffffc10, v6
	v_cvt_f32_f16_e32 v8, v8
	v_lshl_or_b32 v6, v9, 12, v3
	v_cmp_gt_i32_e32 vcc, 1, v9
	v_cndmask_b32_e32 v5, v6, v5, vcc
	v_and_b32_e32 v6, 7, v5
	v_cmp_lt_i32_e32 vcc, 5, v6
	v_cmp_eq_u32_e64 s[0:1], 3, v6
	v_lshrrev_b32_e32 v10, 2, v5
	v_cvt_f64_f32_e32 v[5:6], v8
	s_or_b64 vcc, s[0:1], vcc
	v_addc_co_u32_e32 v8, vcc, 0, v10, vcc
	v_mul_f64 v[5:6], v[5:6], s[12:13]
	v_cmp_gt_i32_e32 vcc, 31, v9
	v_cndmask_b32_e32 v8, v2, v8, vcc
	v_cmp_ne_u32_e32 vcc, 0, v3
	v_cndmask_b32_e64 v3, 0, 1, vcc
	v_lshl_or_b32 v3, v3, 9, v2
	v_cmp_eq_u32_e32 vcc, s14, v9
	v_cndmask_b32_e32 v3, v8, v3, vcc
	v_lshrrev_b32_e32 v4, 16, v4
	v_and_or_b32 v3, v4, s15, v3
	v_and_or_b32 v4, v6, s10, v5
	v_cmp_ne_u32_e32 vcc, 0, v4
	v_cndmask_b32_e64 v4, 0, 1, vcc
	v_lshrrev_b32_e32 v5, 8, v6
	v_bfe_u32 v8, v6, 20, 11
	v_and_or_b32 v4, v5, s11, v4
	v_sub_u32_e32 v9, 0x3f1, v8
	v_or_b32_e32 v5, 0x1000, v4
	v_med3_i32 v9, v9, 0, 13
	v_lshrrev_b32_e32 v10, v9, v5
	v_lshlrev_b32_e32 v9, v9, v10
	v_cmp_ne_u32_e32 vcc, v9, v5
	v_cndmask_b32_e64 v5, 0, 1, vcc
	v_add_u32_e32 v8, 0xfffffc10, v8
	v_or_b32_e32 v5, v10, v5
	v_lshl_or_b32 v9, v8, 12, v4
	v_cmp_gt_i32_e32 vcc, 1, v8
	v_cndmask_b32_e32 v5, v9, v5, vcc
	v_and_b32_e32 v9, 7, v5
	v_cmp_lt_i32_e32 vcc, 5, v9
	v_cmp_eq_u32_e64 s[0:1], 3, v9
	v_lshrrev_b32_e32 v5, 2, v5
	s_or_b64 vcc, s[0:1], vcc
	v_addc_co_u32_e32 v5, vcc, 0, v5, vcc
	v_cmp_gt_i32_e32 vcc, 31, v8
	v_cndmask_b32_e32 v5, v2, v5, vcc
	v_cmp_ne_u32_e32 vcc, 0, v4
	v_cndmask_b32_e64 v4, 0, 1, vcc
	v_lshl_or_b32 v2, v4, 9, v2
	v_cmp_eq_u32_e32 vcc, s14, v8
	v_cndmask_b32_e32 v2, v5, v2, vcc
	v_lshrrev_b32_e32 v4, 16, v6
	v_and_or_b32 v2, v4, s15, v2
	v_and_b32_e32 v3, 0xffff, v3
	v_add_co_u32_e32 v0, vcc, s6, v0
	v_lshl_or_b32 v2, v2, 16, v3
	v_addc_co_u32_e32 v1, vcc, v1, v7, vcc
	global_store_dword v[0:1], v2, off
.LBB0_23:
	s_endpgm
	.section	.rodata,"a",@progbits
	.p2align	6, 0x0
	.amdhsa_kernel bluestein_single_back_len1617_dim1_half_op_CI_CI
		.amdhsa_group_segment_fixed_size 6468
		.amdhsa_private_segment_fixed_size 0
		.amdhsa_kernarg_size 104
		.amdhsa_user_sgpr_count 6
		.amdhsa_user_sgpr_private_segment_buffer 1
		.amdhsa_user_sgpr_dispatch_ptr 0
		.amdhsa_user_sgpr_queue_ptr 0
		.amdhsa_user_sgpr_kernarg_segment_ptr 1
		.amdhsa_user_sgpr_dispatch_id 0
		.amdhsa_user_sgpr_flat_scratch_init 0
		.amdhsa_user_sgpr_private_segment_size 0
		.amdhsa_uses_dynamic_stack 0
		.amdhsa_system_sgpr_private_segment_wavefront_offset 0
		.amdhsa_system_sgpr_workgroup_id_x 1
		.amdhsa_system_sgpr_workgroup_id_y 0
		.amdhsa_system_sgpr_workgroup_id_z 0
		.amdhsa_system_sgpr_workgroup_info 0
		.amdhsa_system_vgpr_workitem_id 0
		.amdhsa_next_free_vgpr 170
		.amdhsa_next_free_sgpr 25
		.amdhsa_reserve_vcc 1
		.amdhsa_reserve_flat_scratch 0
		.amdhsa_float_round_mode_32 0
		.amdhsa_float_round_mode_16_64 0
		.amdhsa_float_denorm_mode_32 3
		.amdhsa_float_denorm_mode_16_64 3
		.amdhsa_dx10_clamp 1
		.amdhsa_ieee_mode 1
		.amdhsa_fp16_overflow 0
		.amdhsa_exception_fp_ieee_invalid_op 0
		.amdhsa_exception_fp_denorm_src 0
		.amdhsa_exception_fp_ieee_div_zero 0
		.amdhsa_exception_fp_ieee_overflow 0
		.amdhsa_exception_fp_ieee_underflow 0
		.amdhsa_exception_fp_ieee_inexact 0
		.amdhsa_exception_int_div_zero 0
	.end_amdhsa_kernel
	.text
.Lfunc_end0:
	.size	bluestein_single_back_len1617_dim1_half_op_CI_CI, .Lfunc_end0-bluestein_single_back_len1617_dim1_half_op_CI_CI
                                        ; -- End function
	.section	.AMDGPU.csdata,"",@progbits
; Kernel info:
; codeLenInByte = 16116
; NumSgprs: 29
; NumVgprs: 170
; ScratchSize: 0
; MemoryBound: 0
; FloatMode: 240
; IeeeMode: 1
; LDSByteSize: 6468 bytes/workgroup (compile time only)
; SGPRBlocks: 3
; VGPRBlocks: 42
; NumSGPRsForWavesPerEU: 29
; NumVGPRsForWavesPerEU: 170
; Occupancy: 1
; WaveLimiterHint : 1
; COMPUTE_PGM_RSRC2:SCRATCH_EN: 0
; COMPUTE_PGM_RSRC2:USER_SGPR: 6
; COMPUTE_PGM_RSRC2:TRAP_HANDLER: 0
; COMPUTE_PGM_RSRC2:TGID_X_EN: 1
; COMPUTE_PGM_RSRC2:TGID_Y_EN: 0
; COMPUTE_PGM_RSRC2:TGID_Z_EN: 0
; COMPUTE_PGM_RSRC2:TIDIG_COMP_CNT: 0
	.type	__hip_cuid_ea4956009619b8d6,@object ; @__hip_cuid_ea4956009619b8d6
	.section	.bss,"aw",@nobits
	.globl	__hip_cuid_ea4956009619b8d6
__hip_cuid_ea4956009619b8d6:
	.byte	0                               ; 0x0
	.size	__hip_cuid_ea4956009619b8d6, 1

	.ident	"AMD clang version 19.0.0git (https://github.com/RadeonOpenCompute/llvm-project roc-6.4.0 25133 c7fe45cf4b819c5991fe208aaa96edf142730f1d)"
	.section	".note.GNU-stack","",@progbits
	.addrsig
	.addrsig_sym __hip_cuid_ea4956009619b8d6
	.amdgpu_metadata
---
amdhsa.kernels:
  - .args:
      - .actual_access:  read_only
        .address_space:  global
        .offset:         0
        .size:           8
        .value_kind:     global_buffer
      - .actual_access:  read_only
        .address_space:  global
        .offset:         8
        .size:           8
        .value_kind:     global_buffer
      - .actual_access:  read_only
        .address_space:  global
        .offset:         16
        .size:           8
        .value_kind:     global_buffer
      - .actual_access:  read_only
        .address_space:  global
        .offset:         24
        .size:           8
        .value_kind:     global_buffer
      - .actual_access:  read_only
        .address_space:  global
        .offset:         32
        .size:           8
        .value_kind:     global_buffer
      - .offset:         40
        .size:           8
        .value_kind:     by_value
      - .address_space:  global
        .offset:         48
        .size:           8
        .value_kind:     global_buffer
      - .address_space:  global
        .offset:         56
        .size:           8
        .value_kind:     global_buffer
      - .address_space:  global
        .offset:         64
        .size:           8
        .value_kind:     global_buffer
      - .address_space:  global
        .offset:         72
        .size:           8
        .value_kind:     global_buffer
      - .offset:         80
        .size:           4
        .value_kind:     by_value
      - .address_space:  global
        .offset:         88
        .size:           8
        .value_kind:     global_buffer
      - .address_space:  global
        .offset:         96
        .size:           8
        .value_kind:     global_buffer
    .group_segment_fixed_size: 6468
    .kernarg_segment_align: 8
    .kernarg_segment_size: 104
    .language:       OpenCL C
    .language_version:
      - 2
      - 0
    .max_flat_workgroup_size: 231
    .name:           bluestein_single_back_len1617_dim1_half_op_CI_CI
    .private_segment_fixed_size: 0
    .sgpr_count:     29
    .sgpr_spill_count: 0
    .symbol:         bluestein_single_back_len1617_dim1_half_op_CI_CI.kd
    .uniform_work_group_size: 1
    .uses_dynamic_stack: false
    .vgpr_count:     170
    .vgpr_spill_count: 0
    .wavefront_size: 64
amdhsa.target:   amdgcn-amd-amdhsa--gfx906
amdhsa.version:
  - 1
  - 2
...

	.end_amdgpu_metadata
